;; amdgpu-corpus repo=ROCm/aiter kind=harvested arch=n/a opt=n/a

/root/src/amdgpu-assembly/repos/ROCm__aiter/hsa/gfx942/fmoe_2stages/fmoe_stage1_bf16_pertokenInt8_g1u1_64x256_pf2.co:	file format elf64-amdgpu

Disassembly of section .text:

0000000000002a00 <_ZN5aiter45fmoe_stage1_bf16_pertokenInt8_g1u1_64x256_pf2E>:
	s_and_b32 s1, s1, 0xffff                                   // 000000002A00: 8601FF01 0000FFFF
	s_load_dwordx2 s[8:9], s[0:1], 0x0                         // 000000002A08: C0060200 00000000
	s_load_dwordx2 s[20:21], s[0:1], 0x10                      // 000000002A10: C0060500 00000010
	s_load_dwordx2 s[24:25], s[0:1], 0x20                      // 000000002A18: C0060600 00000020
	s_load_dwordx2 s[48:49], s[0:1], 0x30                      // 000000002A20: C0060C00 00000030
	s_load_dwordx2 s[28:29], s[0:1], 0x40                      // 000000002A28: C0060700 00000040
	s_load_dwordx2 s[32:33], s[0:1], 0x50                      // 000000002A30: C0060800 00000050
	s_load_dwordx2 s[36:37], s[0:1], 0x60                      // 000000002A38: C0060900 00000060
	s_load_dwordx2 s[12:13], s[0:1], 0x70                      // 000000002A40: C0060300 00000070
	s_load_dwordx2 s[44:45], s[0:1], 0x80                      // 000000002A48: C0060B00 00000080
	s_mov_b32 s89, 0                                           // 000000002A50: BED90080
	s_load_dword s64, s[0:1], 0x90                             // 000000002A54: C0021000 00000090
	s_load_dword s65, s[0:1], 0xa0                             // 000000002A5C: C0021040 000000A0
	s_load_dword s66, s[0:1], 0xb0                             // 000000002A64: C0021080 000000B0
	s_load_dword s67, s[0:1], 0xc0                             // 000000002A6C: C00210C0 000000C0
	s_load_dword s68, s[0:1], 0xd0                             // 000000002A74: C0021100 000000D0
	s_load_dword s69, s[0:1], 0xe0                             // 000000002A7C: C0021140 000000E0
	s_load_dword s71, s[0:1], 0xf0                             // 000000002A84: C00211C0 000000F0
	s_load_dword s72, s[0:1], 0x100                            // 000000002A8C: C0021200 00000100
	s_load_dword s74, s[0:1], 0x110                            // 000000002A94: C0021280 00000110
	s_load_dword s76, s[0:1], 0x120                            // 000000002A9C: C0021300 00000120
	s_load_dword s56, s[0:1], 0x130                            // 000000002AA4: C0020E00 00000130
	s_load_dword s88, s[0:1], 0x140                            // 000000002AAC: C0021600 00000140
	s_load_dword s89, s[0:1], 0x150                            // 000000002AB4: C0021640 00000150
	v_lshrrev_b32_e32 v1, 10, v0                               // 000000002ABC: 2002008A
	v_lshrrev_b32_e32 v2, 10, v1                               // 000000002AC0: 2004028A
	v_and_b32_e32 v2, 0x3ff, v2                                // 000000002AC4: 260404FF 000003FF
	v_and_b32_e32 v1, 0x3ff, v1                                // 000000002ACC: 260202FF 000003FF
	v_and_b32_e32 v0, 0x3ff, v0                                // 000000002AD4: 260000FF 000003FF
	v_lshrrev_b32_e32 v3, 6, v0                                // 000000002ADC: 20060086
	v_and_b32_e32 v0, 63, v0                                   // 000000002AE0: 260000BF
	s_mov_b32 s2, s2                                           // 000000002AE4: BE820002
	s_mov_b32 s3, s3                                           // 000000002AE8: BE830003
	s_mov_b32 s4, s4                                           // 000000002AEC: BE840004
	v_readfirstlane_b32 s7, v3                                 // 000000002AF0: 7E0E0503
	s_waitcnt lgkmcnt(0)                                       // 000000002AF4: BF8CC07F
	s_and_b32 s49, s49, 0xffff                                 // 000000002AF8: 8631FF31 0000FFFF
	s_load_dword s48, s[48:49], 0x0                            // 000000002B00: C0020C18 00000000
	s_and_b32 s45, s45, 0xffff                                 // 000000002B08: 862DFF2D 0000FFFF
	s_and_b32 s9, s9, 0xffff                                   // 000000002B10: 8609FF09 0000FFFF
	s_mul_i32 s60, s66, s68                                    // 000000002B18: 923C4442
	s_mul_i32 s61, s66, 4                                      // 000000002B1C: 923D8442
	s_mov_b32 s22, s60                                         // 000000002B20: BE96003C
	s_mov_b32 s26, -16                                         // 000000002B24: BE9A00D0
	s_mov_b32 s30, s61                                         // 000000002B28: BE9E003D
	s_mov_b32 s14, 0x100                                       // 000000002B2C: BE8E00FF 00000100
	s_mov_b32 s38, -16                                         // 000000002B34: BEA600D0
	s_mov_b32 s10, -16                                         // 000000002B38: BE8A00D0
	s_mov_b32 s34, 0x400                                       // 000000002B3C: BEA200FF 00000400
	s_mov_b32 s23, 0x20000                                     // 000000002B44: BE9700FF 00020000
	s_mov_b32 s27, 0x20000                                     // 000000002B4C: BE9B00FF 00020000
	s_mov_b32 s31, 0x20000                                     // 000000002B54: BE9F00FF 00020000
	s_mov_b32 s35, 0x20000                                     // 000000002B5C: BEA300FF 00020000
	s_mov_b32 s15, 0x20000                                     // 000000002B64: BE8F00FF 00020000
	s_mov_b32 s39, 0x20000                                     // 000000002B6C: BEA700FF 00020000
	s_mov_b32 s11, 0x20000                                     // 000000002B74: BE8B00FF 00020000
	s_and_b32 s21, s21, 0xffff                                 // 000000002B7C: 8615FF15 0000FFFF
	s_and_b32 s25, s25, 0xffff                                 // 000000002B84: 8619FF19 0000FFFF
	s_and_b32 s29, s29, 0xffff                                 // 000000002B8C: 861DFF1D 0000FFFF
	s_and_b32 s33, s33, 0xffff                                 // 000000002B94: 8621FF21 0000FFFF
	s_and_b32 s13, s13, 0xffff                                 // 000000002B9C: 860DFF0D 0000FFFF
	s_and_b32 s37, s37, 0xffff                                 // 000000002BA4: 8625FF25 0000FFFF
	s_or_b32 s21, s21, 0x40000                                 // 000000002BAC: 8715FF15 00040000
	s_or_b32 s25, s25, 0x40000                                 // 000000002BB4: 8719FF19 00040000
	s_or_b32 s29, s29, 0x40000                                 // 000000002BBC: 871DFF1D 00040000
	s_or_b32 s33, s33, 0x40000                                 // 000000002BC4: 8721FF21 00040000
	s_or_b32 s13, s13, 0x40000                                 // 000000002BCC: 870DFF0D 00040000
	s_or_b32 s37, s37, 0x40000                                 // 000000002BD4: 8725FF25 00040000
	v_accvgpr_write_b32 a127, 0                                // 000000002BDC: D3D9407F 18000080
	v_mov_b32_e32 v183, 0                                      // 000000002BE4: 7F6E0280
	s_waitcnt lgkmcnt(0)                                       // 000000002BE8: BF8CC07F
	s_mul_i32 s60, s3, 64                                      // 000000002BEC: 923CC003
	s_cmp_lt_i32 s60, s48                                      // 000000002BF0: BF04303C
	s_cbranch_scc0 label_277E                                  // 000000002BF4: BF8426FD
	s_mov_b32 s80, 0                                           // 000000002BF8: BED00080
	s_lshr_b32 s81, s64, s88                                   // 000000002BFC: 8F515840
	s_mul_i32 s60, s3, 4                                       // 000000002C00: 923C8403
	s_add_u32 s44, s60, s44                                    // 000000002C04: 802C2C3C
	s_addc_u32 s45, 0, s45                                     // 000000002C08: 822D2D80
	s_load_dword s5, s[44:45], 0x0                             // 000000002C0C: C0020156 00000000
	s_mul_i32 s60, s3, 64                                      // 000000002C14: 923CC003
	s_mul_i32 s60, 4, s60                                      // 000000002C18: 923C3C84
	s_add_u32 s12, s60, s12                                    // 000000002C1C: 800C0C3C
	s_addc_u32 s13, 0, s13                                     // 000000002C20: 820D0D80
	v_and_b32_e32 v4, 15, v0                                   // 000000002C24: 2608008F
	v_lshlrev_b32_e32 v4, 2, v4                                // 000000002C28: 24080882
	buffer_load_dword v28, v4, s[12:15], 0 offen               // 000000002C2C: E0501000 80031C04
	v_add_u32_e32 v4, 64, v4                                   // 000000002C34: 680808C0
	buffer_load_dword v29, v4, s[12:15], 0 offen               // 000000002C38: E0501000 80031D04
	v_add_u32_e32 v4, 64, v4                                   // 000000002C40: 680808C0
	buffer_load_dword v30, v4, s[12:15], 0 offen               // 000000002C44: E0501000 80031E04
	v_add_u32_e32 v4, 64, v4                                   // 000000002C4C: 680808C0
	buffer_load_dword v31, v4, s[12:15], 0 offen               // 000000002C50: E0501000 80031F04
	v_add_u32_e32 v4, 64, v4                                   // 000000002C58: 680808C0
	s_mul_i32 s60, 4, s7                                       // 000000002C5C: 923C0784
	v_lshlrev_b32_e32 v4, 4, v0                                // 000000002C60: 24080084
	v_add_u32_e32 v4, s60, v4                                  // 000000002C64: 6808083C
	buffer_load_dword v3, v4, s[12:15], 0 offen                // 000000002C68: E0501000 80030304
	v_mov_b32_e32 v56, 0                                       // 000000002C70: 7E700280
	v_mov_b32_e32 v120, 0                                      // 000000002C74: 7EF00280
	v_mov_b32_e32 v57, 0                                       // 000000002C78: 7E720280
	v_mov_b32_e32 v121, 0                                      // 000000002C7C: 7EF20280
	v_mov_b32_e32 v58, 0                                       // 000000002C80: 7E740280
	v_mov_b32_e32 v122, 0                                      // 000000002C84: 7EF40280
	v_mov_b32_e32 v59, 0                                       // 000000002C88: 7E760280
	v_mov_b32_e32 v123, 0                                      // 000000002C8C: 7EF60280
	v_mov_b32_e32 v60, 0                                       // 000000002C90: 7E780280
	v_mov_b32_e32 v124, 0                                      // 000000002C94: 7EF80280
	v_mov_b32_e32 v61, 0                                       // 000000002C98: 7E7A0280
	v_mov_b32_e32 v125, 0                                      // 000000002C9C: 7EFA0280
	v_mov_b32_e32 v62, 0                                       // 000000002CA0: 7E7C0280
	v_mov_b32_e32 v126, 0                                      // 000000002CA4: 7EFC0280
	v_mov_b32_e32 v63, 0                                       // 000000002CA8: 7E7E0280
	v_mov_b32_e32 v127, 0                                      // 000000002CAC: 7EFE0280
	v_mov_b32_e32 v64, 0                                       // 000000002CB0: 7E800280
	v_mov_b32_e32 v128, 0                                      // 000000002CB4: 7F000280
	v_mov_b32_e32 v65, 0                                       // 000000002CB8: 7E820280
	v_mov_b32_e32 v129, 0                                      // 000000002CBC: 7F020280
	v_mov_b32_e32 v66, 0                                       // 000000002CC0: 7E840280
	v_mov_b32_e32 v130, 0                                      // 000000002CC4: 7F040280
	v_mov_b32_e32 v67, 0                                       // 000000002CC8: 7E860280
	v_mov_b32_e32 v131, 0                                      // 000000002CCC: 7F060280
	v_mov_b32_e32 v68, 0                                       // 000000002CD0: 7E880280
	v_mov_b32_e32 v132, 0                                      // 000000002CD4: 7F080280
	v_mov_b32_e32 v69, 0                                       // 000000002CD8: 7E8A0280
	v_mov_b32_e32 v133, 0                                      // 000000002CDC: 7F0A0280
	v_mov_b32_e32 v70, 0                                       // 000000002CE0: 7E8C0280
	v_mov_b32_e32 v134, 0                                      // 000000002CE4: 7F0C0280
	v_mov_b32_e32 v71, 0                                       // 000000002CE8: 7E8E0280
	v_mov_b32_e32 v135, 0                                      // 000000002CEC: 7F0E0280
	v_mov_b32_e32 v72, 0                                       // 000000002CF0: 7E900280
	v_mov_b32_e32 v136, 0                                      // 000000002CF4: 7F100280
	v_mov_b32_e32 v73, 0                                       // 000000002CF8: 7E920280
	v_mov_b32_e32 v137, 0                                      // 000000002CFC: 7F120280
	v_mov_b32_e32 v74, 0                                       // 000000002D00: 7E940280
	v_mov_b32_e32 v138, 0                                      // 000000002D04: 7F140280
	v_mov_b32_e32 v75, 0                                       // 000000002D08: 7E960280
	v_mov_b32_e32 v139, 0                                      // 000000002D0C: 7F160280
	v_mov_b32_e32 v76, 0                                       // 000000002D10: 7E980280
	v_mov_b32_e32 v140, 0                                      // 000000002D14: 7F180280
	v_mov_b32_e32 v77, 0                                       // 000000002D18: 7E9A0280
	v_mov_b32_e32 v141, 0                                      // 000000002D1C: 7F1A0280
	v_mov_b32_e32 v78, 0                                       // 000000002D20: 7E9C0280
	v_mov_b32_e32 v142, 0                                      // 000000002D24: 7F1C0280
	v_mov_b32_e32 v79, 0                                       // 000000002D28: 7E9E0280
	v_mov_b32_e32 v143, 0                                      // 000000002D2C: 7F1E0280
	v_mov_b32_e32 v80, 0                                       // 000000002D30: 7EA00280
	v_mov_b32_e32 v144, 0                                      // 000000002D34: 7F200280
	v_mov_b32_e32 v81, 0                                       // 000000002D38: 7EA20280
	v_mov_b32_e32 v145, 0                                      // 000000002D3C: 7F220280
	v_mov_b32_e32 v82, 0                                       // 000000002D40: 7EA40280
	v_mov_b32_e32 v146, 0                                      // 000000002D44: 7F240280
	v_mov_b32_e32 v83, 0                                       // 000000002D48: 7EA60280
	v_mov_b32_e32 v147, 0                                      // 000000002D4C: 7F260280
	v_mov_b32_e32 v84, 0                                       // 000000002D50: 7EA80280
	v_mov_b32_e32 v148, 0                                      // 000000002D54: 7F280280
	v_mov_b32_e32 v85, 0                                       // 000000002D58: 7EAA0280
	v_mov_b32_e32 v149, 0                                      // 000000002D5C: 7F2A0280
	v_mov_b32_e32 v86, 0                                       // 000000002D60: 7EAC0280
	v_mov_b32_e32 v150, 0                                      // 000000002D64: 7F2C0280
	v_mov_b32_e32 v87, 0                                       // 000000002D68: 7EAE0280
	v_mov_b32_e32 v151, 0                                      // 000000002D6C: 7F2E0280
	v_mov_b32_e32 v88, 0                                       // 000000002D70: 7EB00280
	v_mov_b32_e32 v152, 0                                      // 000000002D74: 7F300280
	v_mov_b32_e32 v89, 0                                       // 000000002D78: 7EB20280
	v_mov_b32_e32 v153, 0                                      // 000000002D7C: 7F320280
	v_mov_b32_e32 v90, 0                                       // 000000002D80: 7EB40280
	v_mov_b32_e32 v154, 0                                      // 000000002D84: 7F340280
	v_mov_b32_e32 v91, 0                                       // 000000002D88: 7EB60280
	v_mov_b32_e32 v155, 0                                      // 000000002D8C: 7F360280
	v_mov_b32_e32 v92, 0                                       // 000000002D90: 7EB80280
	v_mov_b32_e32 v156, 0                                      // 000000002D94: 7F380280
	v_mov_b32_e32 v93, 0                                       // 000000002D98: 7EBA0280
	v_mov_b32_e32 v157, 0                                      // 000000002D9C: 7F3A0280
	v_mov_b32_e32 v94, 0                                       // 000000002DA0: 7EBC0280
	v_mov_b32_e32 v158, 0                                      // 000000002DA4: 7F3C0280
	v_mov_b32_e32 v95, 0                                       // 000000002DA8: 7EBE0280
	v_mov_b32_e32 v159, 0                                      // 000000002DAC: 7F3E0280
	v_mov_b32_e32 v96, 0                                       // 000000002DB0: 7EC00280
	v_mov_b32_e32 v160, 0                                      // 000000002DB4: 7F400280
	v_mov_b32_e32 v97, 0                                       // 000000002DB8: 7EC20280
	v_mov_b32_e32 v161, 0                                      // 000000002DBC: 7F420280
	v_mov_b32_e32 v98, 0                                       // 000000002DC0: 7EC40280
	v_mov_b32_e32 v162, 0                                      // 000000002DC4: 7F440280
	v_mov_b32_e32 v99, 0                                       // 000000002DC8: 7EC60280
	v_mov_b32_e32 v163, 0                                      // 000000002DCC: 7F460280
	v_mov_b32_e32 v100, 0                                      // 000000002DD0: 7EC80280
	v_mov_b32_e32 v164, 0                                      // 000000002DD4: 7F480280
	v_mov_b32_e32 v101, 0                                      // 000000002DD8: 7ECA0280
	v_mov_b32_e32 v165, 0                                      // 000000002DDC: 7F4A0280
	v_mov_b32_e32 v102, 0                                      // 000000002DE0: 7ECC0280
	v_mov_b32_e32 v166, 0                                      // 000000002DE4: 7F4C0280
	v_mov_b32_e32 v103, 0                                      // 000000002DE8: 7ECE0280
	v_mov_b32_e32 v167, 0                                      // 000000002DEC: 7F4E0280
	v_mov_b32_e32 v104, 0                                      // 000000002DF0: 7ED00280
	v_mov_b32_e32 v168, 0                                      // 000000002DF4: 7F500280
	v_mov_b32_e32 v105, 0                                      // 000000002DF8: 7ED20280
	v_mov_b32_e32 v169, 0                                      // 000000002DFC: 7F520280
	v_mov_b32_e32 v106, 0                                      // 000000002E00: 7ED40280
	v_mov_b32_e32 v170, 0                                      // 000000002E04: 7F540280
	v_mov_b32_e32 v107, 0                                      // 000000002E08: 7ED60280
	v_mov_b32_e32 v171, 0                                      // 000000002E0C: 7F560280
	v_mov_b32_e32 v108, 0                                      // 000000002E10: 7ED80280
	v_mov_b32_e32 v172, 0                                      // 000000002E14: 7F580280
	v_mov_b32_e32 v109, 0                                      // 000000002E18: 7EDA0280
	v_mov_b32_e32 v173, 0                                      // 000000002E1C: 7F5A0280
	v_mov_b32_e32 v110, 0                                      // 000000002E20: 7EDC0280
	v_mov_b32_e32 v174, 0                                      // 000000002E24: 7F5C0280
	v_mov_b32_e32 v111, 0                                      // 000000002E28: 7EDE0280
	v_mov_b32_e32 v175, 0                                      // 000000002E2C: 7F5E0280
	v_mov_b32_e32 v112, 0                                      // 000000002E30: 7EE00280
	v_mov_b32_e32 v176, 0                                      // 000000002E34: 7F600280
	v_mov_b32_e32 v113, 0                                      // 000000002E38: 7EE20280
	v_mov_b32_e32 v177, 0                                      // 000000002E3C: 7F620280
	v_mov_b32_e32 v114, 0                                      // 000000002E40: 7EE40280
	v_mov_b32_e32 v178, 0                                      // 000000002E44: 7F640280
	v_mov_b32_e32 v115, 0                                      // 000000002E48: 7EE60280
	v_mov_b32_e32 v179, 0                                      // 000000002E4C: 7F660280
	v_mov_b32_e32 v116, 0                                      // 000000002E50: 7EE80280
	v_mov_b32_e32 v180, 0                                      // 000000002E54: 7F680280
	v_mov_b32_e32 v117, 0                                      // 000000002E58: 7EEA0280
	v_mov_b32_e32 v181, 0                                      // 000000002E5C: 7F6A0280
	v_mov_b32_e32 v118, 0                                      // 000000002E60: 7EEC0280
	v_mov_b32_e32 v182, 0                                      // 000000002E64: 7F6C0280
	v_mov_b32_e32 v119, 0                                      // 000000002E68: 7EEE0280
	v_mov_b32_e32 v183, 0                                      // 000000002E6C: 7F6E0280
	s_mul_i32 s60, s2, 0x200                                   // 000000002E70: 923CFF02 00000200
	s_cmp_eq_u32 s88, 0                                        // 000000002E78: BF068058
	s_cselect_b32 s61, 1, 2                                    // 000000002E7C: 853D8281
	s_mul_i32 s60, s60, s61                                    // 000000002E80: 923C3D3C
	s_mov_b32 s90, s8                                          // 000000002E84: BEDA0008
	s_mov_b32 s91, s9                                          // 000000002E88: BEDB0009
	s_add_u32 s8, s60, s8                                      // 000000002E8C: 8008083C
	s_addc_u32 s9, 0, s9                                       // 000000002E90: 82090980
	v_lshrrev_b32_e32 v4, 4, v0                                // 000000002E94: 20080084
	v_mul_lo_u32 v20, 34, v4                                   // 000000002E98: D2850014 000208A2
	v_and_b32_e32 v4, 15, v0                                   // 000000002EA0: 2608008F
	v_mul_lo_u32 v5, 2, v4                                     // 000000002EA4: D2850005 00020882
	v_add_u32_e32 v20, v5, v20                                 // 000000002EAC: 68282905
	s_mul_i32 s60, s7, 0x88                                    // 000000002EB0: 923CFF07 00000088
	v_add_u32_e32 v20, s60, v20                                // 000000002EB8: 6828283C
	v_lshlrev_b32_e32 v20, 2, v20                              // 000000002EBC: 24282882
	v_and_b32_e32 v4, 31, v0                                   // 000000002EC0: 2608009F
	v_lshrrev_b32_e32 v4, 1, v4                                // 000000002EC4: 20080881
	v_mul_lo_u32 v21, 34, v4                                   // 000000002EC8: D2850015 000208A2
	v_lshrrev_b32_e32 v4, 5, v0                                // 000000002ED0: 20080085
	v_mul_lo_u32 v4, 8, v4                                     // 000000002ED4: D2850004 00020888
	v_add_u32_e32 v21, v21, v4                                 // 000000002EDC: 682A0915
	v_and_b32_e32 v5, 1, v0                                    // 000000002EE0: 260A0081
	v_add_u32_e32 v21, v5, v21                                 // 000000002EE4: 682A2B05
	s_mul_i32 s60, s7, 2                                       // 000000002EE8: 923C8207
	v_add_u32_e32 v21, s60, v21                                // 000000002EEC: 682A2A3C
	v_lshlrev_b32_e32 v21, 2, v21                              // 000000002EF0: 242A2A82
	s_mul_i32 s60, s7, 0x820                                   // 000000002EF4: 923CFF07 00000820
	s_add_u32 s48, 0, s60                                      // 000000002EFC: 80303C80
	s_add_u32 s49, 0x2080, s48                                 // 000000002F00: 803130FF 00002080
	v_lshrrev_b32_e32 v4, 4, v0                                // 000000002F08: 20080084
	v_lshlrev_b32_e32 v5, 2, v4                                // 000000002F0C: 240A0882
	v_and_b32_e32 v4, 15, v0                                   // 000000002F10: 2608008F
	v_lshrrev_b32_e32 v6, 2, v4                                // 000000002F14: 200C0882
	v_lshlrev_b32_e32 v6, 5, v6                                // 000000002F18: 240C0C85
	v_add_u32_e32 v5, v6, v5                                   // 000000002F1C: 680A0B06
	v_and_b32_e32 v4, 3, v0                                    // 000000002F20: 26080083
	v_mul_u32_u24_e32 v6, 0x208, v4                            // 000000002F24: 100C08FF 00000208
	v_add_u32_e32 v5, v6, v5                                   // 000000002F2C: 680A0B06
	v_lshlrev_b32_e32 v2, 2, v5                                // 000000002F30: 24040A82
	s_waitcnt lgkmcnt(0)                                       // 000000002F34: BF8CC07F
	s_mul_i32 s60, s2, 0x100                                   // 000000002F38: 923CFF02 00000100
	s_mul_i32 s60, s60, s69                                    // 000000002F40: 923C453C
	s_mul_i32 s61, s5, s72                                     // 000000002F44: 923D4805
	s_add_u32 s60, s61, s60                                    // 000000002F48: 803C3C3D
	s_add_u32 s24, s60, s24                                    // 000000002F4C: 8018183C
	s_addc_u32 s25, 0, s25                                     // 000000002F50: 82191980
	s_lshr_b32 s60, s64, s88                                   // 000000002F54: 8F3C5840
	s_mul_i32 s60, s4, s60                                     // 000000002F58: 923C3C04
	s_lshr_b32 s60, s60, 7                                     // 000000002F5C: 8F3C873C
	s_mul_i32 s60, s60, 0x800                                  // 000000002F60: 923CFF3C 00000800
	s_add_u32 s24, s60, s24                                    // 000000002F68: 8018183C
	s_addc_u32 s25, 0, s25                                     // 000000002F6C: 82191980
	s_lshr_b32 s60, s69, s88                                   // 000000002F70: 8F3C5845
	s_mul_i32 s60, s4, s60                                     // 000000002F74: 923C3C04
	s_add_u32 s20, s60, s20                                    // 000000002F78: 8014143C
	s_addc_u32 s21, 0, s21                                     // 000000002F7C: 82151580
	s_mul_i32 s60, s7, 16                                      // 000000002F80: 923C9007
	s_mul_i32 s60, s60, s69                                    // 000000002F84: 923C453C
	v_lshlrev_b32_e32 v52, 4, v0                               // 000000002F88: 24680084
	v_add_u32_e32 v52, s60, v52                                // 000000002F8C: 6868683C
	s_mul_i32 s60, 64, s69                                     // 000000002F90: 923C45C0
	v_add_u32_e32 v53, s60, v52                                // 000000002F94: 686A683C
	v_add_u32_e32 v54, s60, v53                                // 000000002F98: 686C6A3C
	v_add_u32_e32 v55, s60, v54                                // 000000002F9C: 686E6C3C
	s_mov_b32 s84, s24                                         // 000000002FA0: BED40018
	s_mov_b32 s85, s25                                         // 000000002FA4: BED50019
	s_mov_b32 s86, s26                                         // 000000002FA8: BED6001A
	s_mov_b32 s87, s27                                         // 000000002FAC: BED7001B
	s_mul_i32 s60, s69, s65                                    // 000000002FB0: 923C4145
	s_add_u32 s84, s60, s84                                    // 000000002FB4: 8054543C
	s_addc_u32 s85, 0, s85                                     // 000000002FB8: 82555580
	v_lshrrev_b32_e32 v4, 4, v0                                // 000000002FBC: 20080084
	v_lshlrev_b32_e32 v5, 2, v4                                // 000000002FC0: 240A0882
	v_and_b32_e32 v4, 15, v0                                   // 000000002FC4: 2608008F
	v_lshrrev_b32_e32 v6, 2, v4                                // 000000002FC8: 200C0882
	v_lshlrev_b32_e32 v6, 6, v6                                // 000000002FCC: 240C0C86
	v_add_u32_e32 v5, v6, v5                                   // 000000002FD0: 680A0B06
	v_and_b32_e32 v4, 3, v0                                    // 000000002FD4: 26080083
	v_add_u32_e32 v5, v4, v5                                   // 000000002FD8: 680A0B04
	v_lshlrev_b32_e32 v22, 2, v5                               // 000000002FDC: 242C0A82
	s_mul_i32 s60, s7, 16                                      // 000000002FE0: 923C9007
	s_mul_i32 s60, s60, 4                                      // 000000002FE4: 923C843C
	v_add_u32_e32 v22, s60, v22                                // 000000002FE8: 682C2C3C
	s_mul_i32 s60, s2, 0x100                                   // 000000002FEC: 923CFF02 00000100
	s_mul_i32 s60, s60, 4                                      // 000000002FF4: 923C843C
	s_mul_i32 s61, s5, s74                                     // 000000002FF8: 923D4A05
	s_add_u32 s61, s61, s60                                    // 000000002FFC: 803D3C3D
	s_add_u32 s32, s61, s32                                    // 000000003000: 8020203D
	s_addc_u32 s33, 0, s33                                     // 000000003004: 82212180
	s_mov_b32 s57, 0x80                                        // 000000003008: BEB900FF 00000080
	s_mov_b32 s58, 0x800                                       // 000000003010: BEBA00FF 00000800
	s_mov_b32 s83, s58                                         // 000000003018: BED3003A
	s_mov_b32 s52, 0x7060302                                   // 00000000301C: BEB400FF 07060302
	s_mov_b32 s53, 0x400                                       // 000000003024: BEB500FF 00000400
	s_mov_b32 s54, 0x40100                                     // 00000000302C: BEB600FF 00040100
	s_mov_b32 s55, 0x4020100                                   // 000000003034: BEB700FF 04020100
	s_mov_b32 s6, 0x3fb8aa3b                                   // 00000000303C: BE8600FF 3FB8AA3B
	s_mov_b32 s78, 0xbd92220c                                  // 000000003044: BECE00FF BD92220C
	s_mov_b32 s79, 0xbd92220c                                  // 00000000304C: BECF00FF BD92220C
	s_mov_b32 m0, s48                                          // 000000003054: BEFC0030
	v_mov_b32_e32 v1, 0xbfcc4231                               // 000000003058: 7E0202FF BFCC4231
	v_mov_b32_e32 v17, 0xffff0000                              // 000000003060: 7E2202FF FFFF0000
	v_mov_b32_e32 v18, 0x7fff0000                              // 000000003068: 7E2402FF 7FFF0000
	v_mov_b32_e32 v19, 0x7fff                                  // 000000003070: 7E2602FF 00007FFF
	s_waitcnt vmcnt(0) expcnt(0) lgkmcnt(0)                    // 000000003078: BF8C0000
	v_lshrrev_b32_e32 v4, 5, v0                                // 00000000307C: 20080085
	v_xor_b32_e32 v5, 1, v4                                    // 000000003080: 2A0A0881
	v_readlane_b32 s82, v3, 0                                  // 000000003084: D2890052 00010103
	s_and_b32 s82, s82, 0xffffff                               // 00000000308C: 8652FF52 00FFFFFF
	v_mul_lo_u32 v6, v5, s82                                   // 000000003094: D2850006 0000A505
	v_readlane_b32 s82, v3, 1                                  // 00000000309C: D2890052 00010303
	s_and_b32 s82, s82, 0xffffff                               // 0000000030A4: 8652FF52 00FFFFFF
	v_mul_lo_u32 v7, v4, s82                                   // 0000000030AC: D2850007 0000A504
	v_add_u32_e32 v44, v6, v7                                  // 0000000030B4: 68580F06
	v_mul_lo_u32 v44, v44, s68                                 // 0000000030B8: D285002C 0000892C
	v_readlane_b32 s82, v3, 2                                  // 0000000030C0: D2890052 00010503
	s_and_b32 s82, s82, 0xffffff                               // 0000000030C8: 8652FF52 00FFFFFF
	v_mul_lo_u32 v6, v5, s82                                   // 0000000030D0: D2850006 0000A505
	v_readlane_b32 s82, v3, 3                                  // 0000000030D8: D2890052 00010703
	s_and_b32 s82, s82, 0xffffff                               // 0000000030E0: 8652FF52 00FFFFFF
	v_mul_lo_u32 v7, v4, s82                                   // 0000000030E8: D2850007 0000A504
	v_add_u32_e32 v45, v6, v7                                  // 0000000030F0: 685A0F06
	v_mul_lo_u32 v45, v45, s68                                 // 0000000030F4: D285002D 0000892D
	v_readlane_b32 s82, v3, 4                                  // 0000000030FC: D2890052 00010903
	s_and_b32 s82, s82, 0xffffff                               // 000000003104: 8652FF52 00FFFFFF
	v_mul_lo_u32 v6, v5, s82                                   // 00000000310C: D2850006 0000A505
	v_readlane_b32 s82, v3, 5                                  // 000000003114: D2890052 00010B03
	s_and_b32 s82, s82, 0xffffff                               // 00000000311C: 8652FF52 00FFFFFF
	v_mul_lo_u32 v7, v4, s82                                   // 000000003124: D2850007 0000A504
	v_add_u32_e32 v46, v6, v7                                  // 00000000312C: 685C0F06
	v_mul_lo_u32 v46, v46, s68                                 // 000000003130: D285002E 0000892E
	v_readlane_b32 s82, v3, 6                                  // 000000003138: D2890052 00010D03
	s_and_b32 s82, s82, 0xffffff                               // 000000003140: 8652FF52 00FFFFFF
	v_mul_lo_u32 v6, v5, s82                                   // 000000003148: D2850006 0000A505
	v_readlane_b32 s82, v3, 7                                  // 000000003150: D2890052 00010F03
	s_and_b32 s82, s82, 0xffffff                               // 000000003158: 8652FF52 00FFFFFF
	v_mul_lo_u32 v7, v4, s82                                   // 000000003160: D2850007 0000A504
	v_add_u32_e32 v47, v6, v7                                  // 000000003168: 685E0F06
	v_mul_lo_u32 v47, v47, s68                                 // 00000000316C: D285002F 0000892F
	v_readlane_b32 s82, v3, 8                                  // 000000003174: D2890052 00011103
	s_and_b32 s82, s82, 0xffffff                               // 00000000317C: 8652FF52 00FFFFFF
	v_mul_lo_u32 v6, v5, s82                                   // 000000003184: D2850006 0000A505
	v_readlane_b32 s82, v3, 9                                  // 00000000318C: D2890052 00011303
	s_and_b32 s82, s82, 0xffffff                               // 000000003194: 8652FF52 00FFFFFF
	v_mul_lo_u32 v7, v4, s82                                   // 00000000319C: D2850007 0000A504
	v_add_u32_e32 v48, v6, v7                                  // 0000000031A4: 68600F06
	v_mul_lo_u32 v48, v48, s68                                 // 0000000031A8: D2850030 00008930
	v_readlane_b32 s82, v3, 10                                 // 0000000031B0: D2890052 00011503
	s_and_b32 s82, s82, 0xffffff                               // 0000000031B8: 8652FF52 00FFFFFF
	v_mul_lo_u32 v6, v5, s82                                   // 0000000031C0: D2850006 0000A505
	v_readlane_b32 s82, v3, 11                                 // 0000000031C8: D2890052 00011703
	s_and_b32 s82, s82, 0xffffff                               // 0000000031D0: 8652FF52 00FFFFFF
	v_mul_lo_u32 v7, v4, s82                                   // 0000000031D8: D2850007 0000A504
	v_add_u32_e32 v49, v6, v7                                  // 0000000031E0: 68620F06
	v_mul_lo_u32 v49, v49, s68                                 // 0000000031E4: D2850031 00008931
	v_readlane_b32 s82, v3, 12                                 // 0000000031EC: D2890052 00011903
	s_and_b32 s82, s82, 0xffffff                               // 0000000031F4: 8652FF52 00FFFFFF
	v_mul_lo_u32 v6, v5, s82                                   // 0000000031FC: D2850006 0000A505
	v_readlane_b32 s82, v3, 13                                 // 000000003204: D2890052 00011B03
	s_and_b32 s82, s82, 0xffffff                               // 00000000320C: 8652FF52 00FFFFFF
	v_mul_lo_u32 v7, v4, s82                                   // 000000003214: D2850007 0000A504
	v_add_u32_e32 v50, v6, v7                                  // 00000000321C: 68640F06
	v_mul_lo_u32 v50, v50, s68                                 // 000000003220: D2850032 00008932
	v_readlane_b32 s82, v3, 14                                 // 000000003228: D2890052 00011D03
	s_and_b32 s82, s82, 0xffffff                               // 000000003230: 8652FF52 00FFFFFF
	v_mul_lo_u32 v6, v5, s82                                   // 000000003238: D2850006 0000A505
	v_readlane_b32 s82, v3, 15                                 // 000000003240: D2890052 00011F03
	s_and_b32 s82, s82, 0xffffff                               // 000000003248: 8652FF52 00FFFFFF
	v_mul_lo_u32 v7, v4, s82                                   // 000000003250: D2850007 0000A504
	v_add_u32_e32 v51, v6, v7                                  // 000000003258: 68660F06
	v_mul_lo_u32 v51, v51, s68                                 // 00000000325C: D2850033 00008933
	v_and_b32_e32 v4, 31, v0                                   // 000000003264: 2608009F
	v_lshlrev_b32_e32 v4, 2, v4                                // 000000003268: 24080882
	v_add_u32_e32 v44, v44, v4                                 // 00000000326C: 6858092C
	v_add_u32_e32 v45, v45, v4                                 // 000000003270: 685A092D
	v_add_u32_e32 v46, v46, v4                                 // 000000003274: 685C092E
	v_add_u32_e32 v47, v47, v4                                 // 000000003278: 685E092F
	v_add_u32_e32 v48, v48, v4                                 // 00000000327C: 68600930
	v_add_u32_e32 v49, v49, v4                                 // 000000003280: 68620931
	v_add_u32_e32 v50, v50, v4                                 // 000000003284: 68640932
	;; [unrolled: 1-line block ×3, first 2 shown]
	v_and_b32_e32 v28, 0xffffff, v28                           // 00000000328C: 263838FF 00FFFFFF
	v_lshlrev_b32_e32 v28, 2, v28                              // 000000003294: 24383882
	v_and_b32_e32 v29, 0xffffff, v29                           // 000000003298: 263A3AFF 00FFFFFF
	v_lshlrev_b32_e32 v29, 2, v29                              // 0000000032A0: 243A3A82
	v_and_b32_e32 v30, 0xffffff, v30                           // 0000000032A4: 263C3CFF 00FFFFFF
	v_lshlrev_b32_e32 v30, 2, v30                              // 0000000032AC: 243C3C82
	v_and_b32_e32 v31, 0xffffff, v31                           // 0000000032B0: 263E3EFF 00FFFFFF
	v_lshlrev_b32_e32 v31, 2, v31                              // 0000000032B8: 243E3E82
	s_lshl_b32 s3, s66, 2                                      // 0000000032BC: 8E038242
	buffer_load_dword v32, v28, s[28:31], 0 offen              // 0000000032C0: E0501000 8007201C
	buffer_load_dword v33, v29, s[28:31], 0 offen              // 0000000032C8: E0501000 8007211D
	buffer_load_dword v34, v30, s[28:31], 0 offen              // 0000000032D0: E0501000 8007221E
	buffer_load_dword v35, v31, s[28:31], 0 offen              // 0000000032D8: E0501000 8007231F
	buffer_load_dword v24, v22, s[32:35], 0 offen              // 0000000032E0: E0501000 80081816
	s_mul_i32 s60, 4, s65                                      // 0000000032E8: 923C4184
	s_add_u32 s32, s60, s32                                    // 0000000032EC: 8020203C
	s_addc_u32 s33, 0, s33                                     // 0000000032F0: 82212180
	buffer_load_dword v26, v22, s[32:35], 0 offen              // 0000000032F4: E0501000 80081A16
	buffer_load_dword v44, s[20:23], 0 offen lds               // 0000000032FC: E0511000 8005002C
	s_add_u32 m0, 0x100, s48                                   // 000000003304: 807C30FF 00000100
	buffer_load_dword v45, s[20:23], 0 offen lds               // 00000000330C: E0511000 8005002D
	s_add_u32 m0, 0x200, s48                                   // 000000003314: 807C30FF 00000200
	buffer_load_dword v46, s[20:23], 0 offen lds               // 00000000331C: E0511000 8005002E
	s_add_u32 m0, 0x300, s48                                   // 000000003324: 807C30FF 00000300
	buffer_load_dword v47, s[20:23], 0 offen lds               // 00000000332C: E0511000 8005002F
	s_add_u32 m0, 0x400, s48                                   // 000000003334: 807C30FF 00000400
	buffer_load_dword v48, s[20:23], 0 offen lds               // 00000000333C: E0511000 80050030
	s_add_u32 m0, 0x500, s48                                   // 000000003344: 807C30FF 00000500
	buffer_load_dword v49, s[20:23], 0 offen lds               // 00000000334C: E0511000 80050031
	s_add_u32 m0, 0x600, s48                                   // 000000003354: 807C30FF 00000600
	buffer_load_dword v50, s[20:23], 0 offen lds               // 00000000335C: E0511000 80050032
	s_add_u32 m0, 0x700, s48                                   // 000000003364: 807C30FF 00000700
	buffer_load_dword v51, s[20:23], 0 offen lds               // 00000000336C: E0511000 80050033
	s_add_u32 m0, 0, s49                                       // 000000003374: 807C3180
	s_add_u32 s20, s57, s20                                    // 000000003378: 80141439
	s_addc_u32 s21, 0, s21                                     // 00000000337C: 82151580
	buffer_load_dword v44, s[20:23], 0 offen lds               // 000000003380: E0511000 8005002C
	s_add_u32 m0, 0x100, s49                                   // 000000003388: 807C31FF 00000100
	buffer_load_dword v45, s[20:23], 0 offen lds               // 000000003390: E0511000 8005002D
	s_add_u32 m0, 0x200, s49                                   // 000000003398: 807C31FF 00000200
	buffer_load_dword v46, s[20:23], 0 offen lds               // 0000000033A0: E0511000 8005002E
	s_add_u32 m0, 0x300, s49                                   // 0000000033A8: 807C31FF 00000300
	buffer_load_dword v47, s[20:23], 0 offen lds               // 0000000033B0: E0511000 8005002F
	s_add_u32 m0, 0x400, s49                                   // 0000000033B8: 807C31FF 00000400
	buffer_load_dword v48, s[20:23], 0 offen lds               // 0000000033C0: E0511000 80050030
	s_add_u32 m0, 0x500, s49                                   // 0000000033C8: 807C31FF 00000500
	buffer_load_dword v49, s[20:23], 0 offen lds               // 0000000033D0: E0511000 80050031
	s_add_u32 m0, 0x600, s49                                   // 0000000033D8: 807C31FF 00000600
	buffer_load_dword v50, s[20:23], 0 offen lds               // 0000000033E0: E0511000 80050032
	s_add_u32 m0, 0x700, s49                                   // 0000000033E8: 807C31FF 00000700
	buffer_load_dword v51, s[20:23], 0 offen lds               // 0000000033F0: E0511000 80050033
	s_add_u32 m0, 0, s48                                       // 0000000033F8: 807C3080
	s_add_u32 s20, s57, s20                                    // 0000000033FC: 80141439
	s_addc_u32 s21, 0, s21                                     // 000000003400: 82151580
	buffer_load_dwordx4 a[64:67], v52, s[24:27], 0 offen       // 000000003404: E05C1000 80864034
	buffer_load_dwordx4 a[68:71], v52, s[24:27], 0 offen offset:1024// 00000000340C: E05C1400 80864434
	buffer_load_dwordx4 a[72:75], v53, s[24:27], 0 offen       // 000000003414: E05C1000 80864835
	buffer_load_dwordx4 a[76:79], v53, s[24:27], 0 offen offset:1024// 00000000341C: E05C1400 80864C35
	buffer_load_dwordx4 a[80:83], v54, s[24:27], 0 offen       // 000000003424: E05C1000 80865036
	buffer_load_dwordx4 a[84:87], v54, s[24:27], 0 offen offset:1024// 00000000342C: E05C1400 80865436
	buffer_load_dwordx4 a[88:91], v55, s[24:27], 0 offen       // 000000003434: E05C1000 80865837
	buffer_load_dwordx4 a[92:95], v55, s[24:27], 0 offen offset:1024// 00000000343C: E05C1400 80865C37
	s_add_u32 s24, s58, s24                                    // 000000003444: 8018183A
	s_addc_u32 s25, 0, s25                                     // 000000003448: 82191980
	s_waitcnt vmcnt(16)                                        // 00000000344C: BF8C4F70
	s_barrier                                                  // 000000003450: BF8A0000
	ds_read_b128 a[0:3], v2                                    // 000000003454: DBFE0000 00000002
	ds_read_b128 a[4:7], v2 offset:64                          // 00000000345C: DBFE0040 04000002
	ds_read_b128 a[8:11], v2 offset:512                        // 000000003464: DBFE0200 08000002
	ds_read_b128 a[12:15], v2 offset:576                       // 00000000346C: DBFE0240 0C000002
	ds_read_b128 a[16:19], v2 offset:1024                      // 000000003474: DBFE0400 10000002
	ds_read_b128 a[20:23], v2 offset:1088                      // 00000000347C: DBFE0440 14000002
	ds_read_b128 a[24:27], v2 offset:1536                      // 000000003484: DBFE0600 18000002
	ds_read_b128 a[28:31], v2 offset:1600                      // 00000000348C: DBFE0640 1C000002
	s_cmp_lt_i32 s7, 2                                         // 000000003494: BF048207
	s_cbranch_scc0 label_1514                                  // 000000003498: BF84126A

000000000000349c <label_02A7>:
	s_waitcnt vmcnt(6) lgkmcnt(0)                              // 00000000349C: BF8C0076
	s_barrier                                                  // 0000000034A0: BF8A0000
	v_mfma_i32_16x16x32_i8 v[56:59], a[64:65], a[0:1], v[56:59]// 0000000034A4: D3D70038 1CE20140
	v_mfma_i32_16x16x32_i8 v[56:59], a[66:67], a[2:3], v[56:59]// 0000000034AC: D3D70038 1CE20542
	buffer_load_dwordx4 a[96:99], v52, s[84:87], 0 offen       // 0000000034B4: E05C1000 80956034
	v_mfma_i32_16x16x32_i8 v[56:59], a[68:69], a[4:5], v[56:59]// 0000000034BC: D3D70038 1CE20944
	v_mfma_i32_16x16x32_i8 v[56:59], a[70:71], a[6:7], v[56:59]// 0000000034C4: D3D70038 1CE20D46
	v_mfma_i32_16x16x32_i8 v[60:63], a[64:65], a[8:9], v[60:63]// 0000000034CC: D3D7003C 1CF21140
	v_mfma_i32_16x16x32_i8 v[60:63], a[66:67], a[10:11], v[60:63]// 0000000034D4: D3D7003C 1CF21542
	buffer_load_dwordx4 a[100:103], v52, s[84:87], 0 offen offset:1024// 0000000034DC: E05C1400 80956434
	v_mfma_i32_16x16x32_i8 v[60:63], a[68:69], a[12:13], v[60:63]// 0000000034E4: D3D7003C 1CF21944
	v_mfma_i32_16x16x32_i8 v[60:63], a[70:71], a[14:15], v[60:63]// 0000000034EC: D3D7003C 1CF21D46
	v_mfma_i32_16x16x32_i8 v[64:67], a[64:65], a[16:17], v[64:67]// 0000000034F4: D3D70040 1D022140
	v_mfma_i32_16x16x32_i8 v[64:67], a[66:67], a[18:19], v[64:67]// 0000000034FC: D3D70040 1D022542
	buffer_load_dwordx4 a[104:107], v53, s[84:87], 0 offen     // 000000003504: E05C1000 80956835
	v_mfma_i32_16x16x32_i8 v[64:67], a[68:69], a[20:21], v[64:67]// 00000000350C: D3D70040 1D022944
	v_mfma_i32_16x16x32_i8 v[64:67], a[70:71], a[22:23], v[64:67]// 000000003514: D3D70040 1D022D46
	v_mfma_i32_16x16x32_i8 v[68:71], a[64:65], a[24:25], v[68:71]// 00000000351C: D3D70044 1D123140
	v_mfma_i32_16x16x32_i8 v[68:71], a[66:67], a[26:27], v[68:71]// 000000003524: D3D70044 1D123542
	buffer_load_dwordx4 a[108:111], v53, s[84:87], 0 offen offset:1024// 00000000352C: E05C1400 80956C35
	v_mfma_i32_16x16x32_i8 v[68:71], a[68:69], a[28:29], v[68:71]// 000000003534: D3D70044 1D123944
	v_mfma_i32_16x16x32_i8 v[68:71], a[70:71], a[30:31], v[68:71]// 00000000353C: D3D70044 1D123D46
	s_waitcnt vmcnt(8)                                         // 000000003544: BF8C0F78
	v_mfma_i32_16x16x32_i8 v[72:75], a[72:73], a[0:1], v[72:75]// 000000003548: D3D70048 1D220148
	v_mfma_i32_16x16x32_i8 v[72:75], a[74:75], a[2:3], v[72:75]// 000000003550: D3D70048 1D22054A
	buffer_load_dwordx4 a[112:115], v54, s[84:87], 0 offen     // 000000003558: E05C1000 80957036
	v_mfma_i32_16x16x32_i8 v[72:75], a[76:77], a[4:5], v[72:75]// 000000003560: D3D70048 1D22094C
	v_mfma_i32_16x16x32_i8 v[72:75], a[78:79], a[6:7], v[72:75]// 000000003568: D3D70048 1D220D4E
	v_mfma_i32_16x16x32_i8 v[76:79], a[72:73], a[8:9], v[76:79]// 000000003570: D3D7004C 1D321148
	v_mfma_i32_16x16x32_i8 v[76:79], a[74:75], a[10:11], v[76:79]// 000000003578: D3D7004C 1D32154A
	buffer_load_dwordx4 a[116:119], v54, s[84:87], 0 offen offset:1024// 000000003580: E05C1400 80957436
	v_mfma_i32_16x16x32_i8 v[76:79], a[76:77], a[12:13], v[76:79]// 000000003588: D3D7004C 1D32194C
	v_mfma_i32_16x16x32_i8 v[76:79], a[78:79], a[14:15], v[76:79]// 000000003590: D3D7004C 1D321D4E
	v_mfma_i32_16x16x32_i8 v[80:83], a[72:73], a[16:17], v[80:83]// 000000003598: D3D70050 1D422148
	v_mfma_i32_16x16x32_i8 v[80:83], a[74:75], a[18:19], v[80:83]// 0000000035A0: D3D70050 1D42254A
	buffer_load_dwordx4 a[120:123], v55, s[84:87], 0 offen     // 0000000035A8: E05C1000 80957837
	v_mfma_i32_16x16x32_i8 v[80:83], a[76:77], a[20:21], v[80:83]// 0000000035B0: D3D70050 1D42294C
	v_mfma_i32_16x16x32_i8 v[80:83], a[78:79], a[22:23], v[80:83]// 0000000035B8: D3D70050 1D422D4E
	v_mfma_i32_16x16x32_i8 v[84:87], a[72:73], a[24:25], v[84:87]// 0000000035C0: D3D70054 1D523148
	v_mfma_i32_16x16x32_i8 v[84:87], a[74:75], a[26:27], v[84:87]// 0000000035C8: D3D70054 1D52354A
	buffer_load_dwordx4 a[124:127], v55, s[84:87], 0 offen offset:1024// 0000000035D0: E05C1400 80957C37
	buffer_load_dword v44, s[20:23], 0 offen lds               // 0000000035D8: E0511000 8005002C
	s_add_u32 m0, 0x100, s48                                   // 0000000035E0: 807C30FF 00000100
	v_mfma_i32_16x16x32_i8 v[84:87], a[76:77], a[28:29], v[84:87]// 0000000035E8: D3D70054 1D52394C
	v_mfma_i32_16x16x32_i8 v[84:87], a[78:79], a[30:31], v[84:87]// 0000000035F0: D3D70054 1D523D4E
	buffer_load_dword v45, s[20:23], 0 offen lds               // 0000000035F8: E0511000 8005002D
	s_add_u32 m0, 0x200, s48                                   // 000000003600: 807C30FF 00000200
	s_waitcnt vmcnt(12)                                        // 000000003608: BF8C0F7C
	v_mfma_i32_16x16x32_i8 v[88:91], a[80:81], a[0:1], v[88:91]// 00000000360C: D3D70058 1D620150
	v_mfma_i32_16x16x32_i8 v[88:91], a[82:83], a[2:3], v[88:91]// 000000003614: D3D70058 1D620552
	buffer_load_dword v46, s[20:23], 0 offen lds               // 00000000361C: E0511000 8005002E
	s_add_u32 m0, 0x300, s48                                   // 000000003624: 807C30FF 00000300
	v_mfma_i32_16x16x32_i8 v[88:91], a[84:85], a[4:5], v[88:91]// 00000000362C: D3D70058 1D620954
	v_mfma_i32_16x16x32_i8 v[88:91], a[86:87], a[6:7], v[88:91]// 000000003634: D3D70058 1D620D56
	buffer_load_dword v47, s[20:23], 0 offen lds               // 00000000363C: E0511000 8005002F
	s_add_u32 m0, 0x400, s48                                   // 000000003644: 807C30FF 00000400
	v_mfma_i32_16x16x32_i8 v[92:95], a[80:81], a[8:9], v[92:95]// 00000000364C: D3D7005C 1D721150
	v_mfma_i32_16x16x32_i8 v[92:95], a[82:83], a[10:11], v[92:95]// 000000003654: D3D7005C 1D721552
	buffer_load_dword v48, s[20:23], 0 offen lds               // 00000000365C: E0511000 80050030
	s_add_u32 m0, 0x500, s48                                   // 000000003664: 807C30FF 00000500
	v_mfma_i32_16x16x32_i8 v[92:95], a[84:85], a[12:13], v[92:95]// 00000000366C: D3D7005C 1D721954
	v_mfma_i32_16x16x32_i8 v[92:95], a[86:87], a[14:15], v[92:95]// 000000003674: D3D7005C 1D721D56
	buffer_load_dword v49, s[20:23], 0 offen lds               // 00000000367C: E0511000 80050031
	s_add_u32 m0, 0x600, s48                                   // 000000003684: 807C30FF 00000600
	v_mfma_i32_16x16x32_i8 v[96:99], a[80:81], a[16:17], v[96:99]// 00000000368C: D3D70060 1D822150
	v_mfma_i32_16x16x32_i8 v[96:99], a[82:83], a[18:19], v[96:99]// 000000003694: D3D70060 1D822552
	buffer_load_dword v50, s[20:23], 0 offen lds               // 00000000369C: E0511000 80050032
	s_add_u32 m0, 0x700, s48                                   // 0000000036A4: 807C30FF 00000700
	v_mfma_i32_16x16x32_i8 v[96:99], a[84:85], a[20:21], v[96:99]// 0000000036AC: D3D70060 1D822954
	v_mfma_i32_16x16x32_i8 v[96:99], a[86:87], a[22:23], v[96:99]// 0000000036B4: D3D70060 1D822D56
	buffer_load_dword v51, s[20:23], 0 offen lds               // 0000000036BC: E0511000 80050033
	s_add_u32 m0, 0, s49                                       // 0000000036C4: 807C3180
	v_mfma_i32_16x16x32_i8 v[100:103], a[80:81], a[24:25], v[100:103]// 0000000036C8: D3D70064 1D923150
	v_mfma_i32_16x16x32_i8 v[100:103], a[82:83], a[26:27], v[100:103]// 0000000036D0: D3D70064 1D923552
	v_mfma_i32_16x16x32_i8 v[100:103], a[84:85], a[28:29], v[100:103]// 0000000036D8: D3D70064 1D923954
	v_mfma_i32_16x16x32_i8 v[100:103], a[86:87], a[30:31], v[100:103]// 0000000036E0: D3D70064 1D923D56
	s_waitcnt vmcnt(16)                                        // 0000000036E8: BF8C4F70
	v_mfma_i32_16x16x32_i8 v[104:107], a[88:89], a[0:1], v[104:107]// 0000000036EC: D3D70068 1DA20158
	v_mfma_i32_16x16x32_i8 v[104:107], a[90:91], a[2:3], v[104:107]// 0000000036F4: D3D70068 1DA2055A
	v_mfma_i32_16x16x32_i8 v[104:107], a[92:93], a[4:5], v[104:107]// 0000000036FC: D3D70068 1DA2095C
	v_mfma_i32_16x16x32_i8 v[104:107], a[94:95], a[6:7], v[104:107]// 000000003704: D3D70068 1DA20D5E
	v_mfma_i32_16x16x32_i8 v[108:111], a[88:89], a[8:9], v[108:111]// 00000000370C: D3D7006C 1DB21158
	v_mfma_i32_16x16x32_i8 v[108:111], a[90:91], a[10:11], v[108:111]// 000000003714: D3D7006C 1DB2155A
	v_mfma_i32_16x16x32_i8 v[108:111], a[92:93], a[12:13], v[108:111]// 00000000371C: D3D7006C 1DB2195C
	v_mfma_i32_16x16x32_i8 v[108:111], a[94:95], a[14:15], v[108:111]// 000000003724: D3D7006C 1DB21D5E
	v_mfma_i32_16x16x32_i8 v[112:115], a[88:89], a[16:17], v[112:115]// 00000000372C: D3D70070 1DC22158
	v_mfma_i32_16x16x32_i8 v[112:115], a[90:91], a[18:19], v[112:115]// 000000003734: D3D70070 1DC2255A
	v_mfma_i32_16x16x32_i8 v[112:115], a[92:93], a[20:21], v[112:115]// 00000000373C: D3D70070 1DC2295C
	v_mfma_i32_16x16x32_i8 v[112:115], a[94:95], a[22:23], v[112:115]// 000000003744: D3D70070 1DC22D5E
	v_mfma_i32_16x16x32_i8 v[116:119], a[88:89], a[24:25], v[116:119]// 00000000374C: D3D70074 1DD23158
	v_mfma_i32_16x16x32_i8 v[116:119], a[90:91], a[26:27], v[116:119]// 000000003754: D3D70074 1DD2355A
	s_add_u32 s60, 0x80, s80                                   // 00000000375C: 803C50FF 00000080
	s_cmp_lt_u32 s60, s81                                      // 000000003764: BF0A513C
	s_cselect_b32 s83, s83, 0                                  // 000000003768: 85538053
	v_mfma_i32_16x16x32_i8 v[116:119], a[92:93], a[28:29], v[116:119]// 00000000376C: D3D70074 1DD2395C
	v_mfma_i32_16x16x32_i8 v[116:119], a[94:95], a[30:31], v[116:119]// 000000003774: D3D70074 1DD23D5E
	s_waitcnt vmcnt(8)                                         // 00000000377C: BF8C0F78
	v_mfma_i32_16x16x32_i8 v[120:123], a[96:97], a[0:1], v[120:123]// 000000003780: D3D70078 1DE20160
	v_mfma_i32_16x16x32_i8 v[120:123], a[98:99], a[2:3], v[120:123]// 000000003788: D3D70078 1DE20562
	buffer_load_dwordx4 a[64:67], v52, s[24:27], 0 offen       // 000000003790: E05C1000 80864034
	v_mfma_i32_16x16x32_i8 v[120:123], a[100:101], a[4:5], v[120:123]// 000000003798: D3D70078 1DE20964
	v_mfma_i32_16x16x32_i8 v[120:123], a[102:103], a[6:7], v[120:123]// 0000000037A0: D3D70078 1DE20D66
	ds_read_b128 a[32:35], v2 offset:8320                      // 0000000037A8: DBFE2080 20000002
	ds_read_b128 a[36:39], v2 offset:8384                      // 0000000037B0: DBFE20C0 24000002
	v_mfma_i32_16x16x32_i8 v[136:139], a[104:105], a[0:1], v[136:139]// 0000000037B8: D3D70088 1E220168
	v_mfma_i32_16x16x32_i8 v[136:139], a[106:107], a[2:3], v[136:139]// 0000000037C0: D3D70088 1E22056A
	buffer_load_dwordx4 a[68:71], v52, s[24:27], 0 offen offset:1024// 0000000037C8: E05C1400 80864434
	v_mfma_i32_16x16x32_i8 v[136:139], a[108:109], a[4:5], v[136:139]// 0000000037D0: D3D70088 1E22096C
	v_mfma_i32_16x16x32_i8 v[136:139], a[110:111], a[6:7], v[136:139]// 0000000037D8: D3D70088 1E220D6E
	ds_read_b128 a[40:43], v2 offset:8832                      // 0000000037E0: DBFE2280 28000002
	ds_read_b128 a[44:47], v2 offset:8896                      // 0000000037E8: DBFE22C0 2C000002
	v_mfma_i32_16x16x32_i8 v[152:155], a[112:113], a[0:1], v[152:155]// 0000000037F0: D3D70098 1E620170
	v_mfma_i32_16x16x32_i8 v[152:155], a[114:115], a[2:3], v[152:155]// 0000000037F8: D3D70098 1E620572
	buffer_load_dwordx4 a[72:75], v53, s[24:27], 0 offen       // 000000003800: E05C1000 80864835
	v_mfma_i32_16x16x32_i8 v[152:155], a[116:117], a[4:5], v[152:155]// 000000003808: D3D70098 1E620974
	v_mfma_i32_16x16x32_i8 v[152:155], a[118:119], a[6:7], v[152:155]// 000000003810: D3D70098 1E620D76
	ds_read_b128 a[48:51], v2 offset:9344                      // 000000003818: DBFE2480 30000002
	ds_read_b128 a[52:55], v2 offset:9408                      // 000000003820: DBFE24C0 34000002
	v_mfma_i32_16x16x32_i8 v[168:171], a[120:121], a[0:1], v[168:171]// 000000003828: D3D700A8 1EA20178
	v_mfma_i32_16x16x32_i8 v[168:171], a[122:123], a[2:3], v[168:171]// 000000003830: D3D700A8 1EA2057A
	buffer_load_dwordx4 a[76:79], v53, s[24:27], 0 offen offset:1024// 000000003838: E05C1400 80864C35
	v_mfma_i32_16x16x32_i8 v[168:171], a[124:125], a[4:5], v[168:171]// 000000003840: D3D700A8 1EA2097C
	v_mfma_i32_16x16x32_i8 v[168:171], a[126:127], a[6:7], v[168:171]// 000000003848: D3D700A8 1EA20D7E
	ds_read_b128 a[56:59], v2 offset:9856                      // 000000003850: DBFE2680 38000002
	ds_read_b128 a[60:63], v2 offset:9920                      // 000000003858: DBFE26C0 3C000002
	v_mfma_i32_16x16x32_i8 v[124:127], a[96:97], a[8:9], v[124:127]// 000000003860: D3D7007C 1DF21160
	v_mfma_i32_16x16x32_i8 v[124:127], a[98:99], a[10:11], v[124:127]// 000000003868: D3D7007C 1DF21562
	buffer_load_dwordx4 a[80:83], v54, s[24:27], 0 offen       // 000000003870: E05C1000 80865036
	v_mfma_i32_16x16x32_i8 v[124:127], a[100:101], a[12:13], v[124:127]// 000000003878: D3D7007C 1DF21964
	v_mfma_i32_16x16x32_i8 v[124:127], a[102:103], a[14:15], v[124:127]// 000000003880: D3D7007C 1DF21D66
	v_mfma_i32_16x16x32_i8 v[140:143], a[104:105], a[8:9], v[140:143]// 000000003888: D3D7008C 1E321168
	v_mfma_i32_16x16x32_i8 v[140:143], a[106:107], a[10:11], v[140:143]// 000000003890: D3D7008C 1E32156A
	buffer_load_dwordx4 a[84:87], v54, s[24:27], 0 offen offset:1024// 000000003898: E05C1400 80865436
	v_mfma_i32_16x16x32_i8 v[140:143], a[108:109], a[12:13], v[140:143]// 0000000038A0: D3D7008C 1E32196C
	v_mfma_i32_16x16x32_i8 v[140:143], a[110:111], a[14:15], v[140:143]// 0000000038A8: D3D7008C 1E321D6E
	v_mfma_i32_16x16x32_i8 v[156:159], a[112:113], a[8:9], v[156:159]// 0000000038B0: D3D7009C 1E721170
	v_mfma_i32_16x16x32_i8 v[156:159], a[114:115], a[10:11], v[156:159]// 0000000038B8: D3D7009C 1E721572
	buffer_load_dwordx4 a[88:91], v55, s[24:27], 0 offen       // 0000000038C0: E05C1000 80865837
	v_mfma_i32_16x16x32_i8 v[156:159], a[116:117], a[12:13], v[156:159]// 0000000038C8: D3D7009C 1E721974
	v_mfma_i32_16x16x32_i8 v[156:159], a[118:119], a[14:15], v[156:159]// 0000000038D0: D3D7009C 1E721D76
	v_mfma_i32_16x16x32_i8 v[172:175], a[120:121], a[8:9], v[172:175]// 0000000038D8: D3D700AC 1EB21178
	v_mfma_i32_16x16x32_i8 v[172:175], a[122:123], a[10:11], v[172:175]// 0000000038E0: D3D700AC 1EB2157A
	buffer_load_dwordx4 a[92:95], v55, s[24:27], 0 offen offset:1024// 0000000038E8: E05C1400 80865C37
	v_mfma_i32_16x16x32_i8 v[172:175], a[124:125], a[12:13], v[172:175]// 0000000038F0: D3D700AC 1EB2197C
	v_mfma_i32_16x16x32_i8 v[172:175], a[126:127], a[14:15], v[172:175]// 0000000038F8: D3D700AC 1EB21D7E
	v_mfma_i32_16x16x32_i8 v[128:131], a[96:97], a[16:17], v[128:131]// 000000003900: D3D70080 1E022160
	v_mfma_i32_16x16x32_i8 v[128:131], a[98:99], a[18:19], v[128:131]// 000000003908: D3D70080 1E022562
	v_mfma_i32_16x16x32_i8 v[128:131], a[100:101], a[20:21], v[128:131]// 000000003910: D3D70080 1E022964
	v_mfma_i32_16x16x32_i8 v[128:131], a[102:103], a[22:23], v[128:131]// 000000003918: D3D70080 1E022D66
	v_mfma_i32_16x16x32_i8 v[144:147], a[104:105], a[16:17], v[144:147]// 000000003920: D3D70090 1E422168
	v_mfma_i32_16x16x32_i8 v[144:147], a[106:107], a[18:19], v[144:147]// 000000003928: D3D70090 1E42256A
	v_mfma_i32_16x16x32_i8 v[144:147], a[108:109], a[20:21], v[144:147]// 000000003930: D3D70090 1E42296C
	v_mfma_i32_16x16x32_i8 v[144:147], a[110:111], a[22:23], v[144:147]// 000000003938: D3D70090 1E422D6E
	v_mfma_i32_16x16x32_i8 v[160:163], a[112:113], a[16:17], v[160:163]// 000000003940: D3D700A0 1E822170
	v_mfma_i32_16x16x32_i8 v[160:163], a[114:115], a[18:19], v[160:163]// 000000003948: D3D700A0 1E822572
	v_mfma_i32_16x16x32_i8 v[160:163], a[116:117], a[20:21], v[160:163]// 000000003950: D3D700A0 1E822974
	v_mfma_i32_16x16x32_i8 v[160:163], a[118:119], a[22:23], v[160:163]// 000000003958: D3D700A0 1E822D76
	v_mfma_i32_16x16x32_i8 v[176:179], a[120:121], a[16:17], v[176:179]// 000000003960: D3D700B0 1EC22178
	v_mfma_i32_16x16x32_i8 v[176:179], a[122:123], a[18:19], v[176:179]// 000000003968: D3D700B0 1EC2257A
	v_mfma_i32_16x16x32_i8 v[176:179], a[124:125], a[20:21], v[176:179]// 000000003970: D3D700B0 1EC2297C
	v_mfma_i32_16x16x32_i8 v[176:179], a[126:127], a[22:23], v[176:179]// 000000003978: D3D700B0 1EC22D7E
	v_mfma_i32_16x16x32_i8 v[132:135], a[96:97], a[24:25], v[132:135]// 000000003980: D3D70084 1E123160
	v_mfma_i32_16x16x32_i8 v[132:135], a[98:99], a[26:27], v[132:135]// 000000003988: D3D70084 1E123562
	v_mfma_i32_16x16x32_i8 v[132:135], a[100:101], a[28:29], v[132:135]// 000000003990: D3D70084 1E123964
	v_mfma_i32_16x16x32_i8 v[132:135], a[102:103], a[30:31], v[132:135]// 000000003998: D3D70084 1E123D66
	v_mfma_i32_16x16x32_i8 v[148:151], a[104:105], a[24:25], v[148:151]// 0000000039A0: D3D70094 1E523168
	v_mfma_i32_16x16x32_i8 v[148:151], a[106:107], a[26:27], v[148:151]// 0000000039A8: D3D70094 1E52356A
	v_mfma_i32_16x16x32_i8 v[148:151], a[108:109], a[28:29], v[148:151]// 0000000039B0: D3D70094 1E52396C
	v_mfma_i32_16x16x32_i8 v[148:151], a[110:111], a[30:31], v[148:151]// 0000000039B8: D3D70094 1E523D6E
	v_mfma_i32_16x16x32_i8 v[164:167], a[112:113], a[24:25], v[164:167]// 0000000039C0: D3D700A4 1E923170
	v_mfma_i32_16x16x32_i8 v[164:167], a[114:115], a[26:27], v[164:167]// 0000000039C8: D3D700A4 1E923572
	v_mfma_i32_16x16x32_i8 v[164:167], a[116:117], a[28:29], v[164:167]// 0000000039D0: D3D700A4 1E923974
	s_add_u32 s60, 0x180, s80                                  // 0000000039D8: 803C50FF 00000180
	s_cmp_lt_u32 s60, s81                                      // 0000000039E0: BF0A513C
	s_cselect_b32 s57, s57, 0                                  // 0000000039E4: 85398039
	v_mfma_i32_16x16x32_i8 v[164:167], a[118:119], a[30:31], v[164:167]// 0000000039E8: D3D700A4 1E923D76
	s_add_u32 s60, 0x100, s80                                  // 0000000039F0: 803C50FF 00000100
	s_cmp_lt_u32 s60, s81                                      // 0000000039F8: BF0A513C
	s_cselect_b32 s58, s58, 0                                  // 0000000039FC: 853A803A
	v_mfma_i32_16x16x32_i8 v[180:183], a[120:121], a[24:25], v[180:183]// 000000003A00: D3D700B4 1ED23178
	s_add_u32 s24, s58, s24                                    // 000000003A08: 8018183A
	s_addc_u32 s25, 0, s25                                     // 000000003A0C: 82191980
	v_mfma_i32_16x16x32_i8 v[180:183], a[122:123], a[26:27], v[180:183]// 000000003A10: D3D700B4 1ED2357A
	s_add_u32 s20, s57, s20                                    // 000000003A18: 80141439
	s_addc_u32 s21, 0, s21                                     // 000000003A1C: 82151580
	v_mfma_i32_16x16x32_i8 v[180:183], a[124:125], a[28:29], v[180:183]// 000000003A20: D3D700B4 1ED2397C
	s_add_u32 s84, s83, s84                                    // 000000003A28: 80545453
	s_addc_u32 s85, 0, s85                                     // 000000003A2C: 82555580
	v_mfma_i32_16x16x32_i8 v[180:183], a[126:127], a[30:31], v[180:183]// 000000003A30: D3D700B4 1ED23D7E
	s_addk_i32 s80, 0x80                                       // 000000003A38: B7500080
	s_cmp_lt_i32 s80, s81                                      // 000000003A3C: BF045150
	s_cbranch_scc0 label_057C                                  // 000000003A40: BF84016B
	s_waitcnt vmcnt(6) lgkmcnt(0)                              // 000000003A44: BF8C0076
	s_barrier                                                  // 000000003A48: BF8A0000
	v_mfma_i32_16x16x32_i8 v[56:59], a[64:65], a[32:33], v[56:59]// 000000003A4C: D3D70038 1CE24140
	v_mfma_i32_16x16x32_i8 v[56:59], a[66:67], a[34:35], v[56:59]// 000000003A54: D3D70038 1CE24542
	buffer_load_dwordx4 a[96:99], v52, s[84:87], 0 offen       // 000000003A5C: E05C1000 80956034
	v_mfma_i32_16x16x32_i8 v[56:59], a[68:69], a[36:37], v[56:59]// 000000003A64: D3D70038 1CE24944
	v_mfma_i32_16x16x32_i8 v[56:59], a[70:71], a[38:39], v[56:59]// 000000003A6C: D3D70038 1CE24D46
	v_mfma_i32_16x16x32_i8 v[60:63], a[64:65], a[40:41], v[60:63]// 000000003A74: D3D7003C 1CF25140
	v_mfma_i32_16x16x32_i8 v[60:63], a[66:67], a[42:43], v[60:63]// 000000003A7C: D3D7003C 1CF25542
	buffer_load_dwordx4 a[100:103], v52, s[84:87], 0 offen offset:1024// 000000003A84: E05C1400 80956434
	v_mfma_i32_16x16x32_i8 v[60:63], a[68:69], a[44:45], v[60:63]// 000000003A8C: D3D7003C 1CF25944
	v_mfma_i32_16x16x32_i8 v[60:63], a[70:71], a[46:47], v[60:63]// 000000003A94: D3D7003C 1CF25D46
	v_mfma_i32_16x16x32_i8 v[64:67], a[64:65], a[48:49], v[64:67]// 000000003A9C: D3D70040 1D026140
	v_mfma_i32_16x16x32_i8 v[64:67], a[66:67], a[50:51], v[64:67]// 000000003AA4: D3D70040 1D026542
	buffer_load_dwordx4 a[104:107], v53, s[84:87], 0 offen     // 000000003AAC: E05C1000 80956835
	v_mfma_i32_16x16x32_i8 v[64:67], a[68:69], a[52:53], v[64:67]// 000000003AB4: D3D70040 1D026944
	v_mfma_i32_16x16x32_i8 v[64:67], a[70:71], a[54:55], v[64:67]// 000000003ABC: D3D70040 1D026D46
	v_mfma_i32_16x16x32_i8 v[68:71], a[64:65], a[56:57], v[68:71]// 000000003AC4: D3D70044 1D127140
	v_mfma_i32_16x16x32_i8 v[68:71], a[66:67], a[58:59], v[68:71]// 000000003ACC: D3D70044 1D127542
	buffer_load_dwordx4 a[108:111], v53, s[84:87], 0 offen offset:1024// 000000003AD4: E05C1400 80956C35
	v_mfma_i32_16x16x32_i8 v[68:71], a[68:69], a[60:61], v[68:71]// 000000003ADC: D3D70044 1D127944
	v_mfma_i32_16x16x32_i8 v[68:71], a[70:71], a[62:63], v[68:71]// 000000003AE4: D3D70044 1D127D46
	s_waitcnt vmcnt(8)                                         // 000000003AEC: BF8C0F78
	v_mfma_i32_16x16x32_i8 v[72:75], a[72:73], a[32:33], v[72:75]// 000000003AF0: D3D70048 1D224148
	v_mfma_i32_16x16x32_i8 v[72:75], a[74:75], a[34:35], v[72:75]// 000000003AF8: D3D70048 1D22454A
	buffer_load_dwordx4 a[112:115], v54, s[84:87], 0 offen     // 000000003B00: E05C1000 80957036
	v_mfma_i32_16x16x32_i8 v[72:75], a[76:77], a[36:37], v[72:75]// 000000003B08: D3D70048 1D22494C
	v_mfma_i32_16x16x32_i8 v[72:75], a[78:79], a[38:39], v[72:75]// 000000003B10: D3D70048 1D224D4E
	v_mfma_i32_16x16x32_i8 v[76:79], a[72:73], a[40:41], v[76:79]// 000000003B18: D3D7004C 1D325148
	v_mfma_i32_16x16x32_i8 v[76:79], a[74:75], a[42:43], v[76:79]// 000000003B20: D3D7004C 1D32554A
	buffer_load_dwordx4 a[116:119], v54, s[84:87], 0 offen offset:1024// 000000003B28: E05C1400 80957436
	v_mfma_i32_16x16x32_i8 v[76:79], a[76:77], a[44:45], v[76:79]// 000000003B30: D3D7004C 1D32594C
	v_mfma_i32_16x16x32_i8 v[76:79], a[78:79], a[46:47], v[76:79]// 000000003B38: D3D7004C 1D325D4E
	v_mfma_i32_16x16x32_i8 v[80:83], a[72:73], a[48:49], v[80:83]// 000000003B40: D3D70050 1D426148
	v_mfma_i32_16x16x32_i8 v[80:83], a[74:75], a[50:51], v[80:83]// 000000003B48: D3D70050 1D42654A
	buffer_load_dwordx4 a[120:123], v55, s[84:87], 0 offen     // 000000003B50: E05C1000 80957837
	v_mfma_i32_16x16x32_i8 v[80:83], a[76:77], a[52:53], v[80:83]// 000000003B58: D3D70050 1D42694C
	v_mfma_i32_16x16x32_i8 v[80:83], a[78:79], a[54:55], v[80:83]// 000000003B60: D3D70050 1D426D4E
	v_mfma_i32_16x16x32_i8 v[84:87], a[72:73], a[56:57], v[84:87]// 000000003B68: D3D70054 1D527148
	v_mfma_i32_16x16x32_i8 v[84:87], a[74:75], a[58:59], v[84:87]// 000000003B70: D3D70054 1D52754A
	buffer_load_dwordx4 a[124:127], v55, s[84:87], 0 offen offset:1024// 000000003B78: E05C1400 80957C37
	buffer_load_dword v44, s[20:23], 0 offen lds               // 000000003B80: E0511000 8005002C
	s_add_u32 m0, 0x100, s49                                   // 000000003B88: 807C31FF 00000100
	v_mfma_i32_16x16x32_i8 v[84:87], a[76:77], a[60:61], v[84:87]// 000000003B90: D3D70054 1D52794C
	v_mfma_i32_16x16x32_i8 v[84:87], a[78:79], a[62:63], v[84:87]// 000000003B98: D3D70054 1D527D4E
	buffer_load_dword v45, s[20:23], 0 offen lds               // 000000003BA0: E0511000 8005002D
	s_add_u32 m0, 0x200, s49                                   // 000000003BA8: 807C31FF 00000200
	s_waitcnt vmcnt(12)                                        // 000000003BB0: BF8C0F7C
	v_mfma_i32_16x16x32_i8 v[88:91], a[80:81], a[32:33], v[88:91]// 000000003BB4: D3D70058 1D624150
	v_mfma_i32_16x16x32_i8 v[88:91], a[82:83], a[34:35], v[88:91]// 000000003BBC: D3D70058 1D624552
	buffer_load_dword v46, s[20:23], 0 offen lds               // 000000003BC4: E0511000 8005002E
	s_add_u32 m0, 0x300, s49                                   // 000000003BCC: 807C31FF 00000300
	v_mfma_i32_16x16x32_i8 v[88:91], a[84:85], a[36:37], v[88:91]// 000000003BD4: D3D70058 1D624954
	v_mfma_i32_16x16x32_i8 v[88:91], a[86:87], a[38:39], v[88:91]// 000000003BDC: D3D70058 1D624D56
	buffer_load_dword v47, s[20:23], 0 offen lds               // 000000003BE4: E0511000 8005002F
	s_add_u32 m0, 0x400, s49                                   // 000000003BEC: 807C31FF 00000400
	v_mfma_i32_16x16x32_i8 v[92:95], a[80:81], a[40:41], v[92:95]// 000000003BF4: D3D7005C 1D725150
	v_mfma_i32_16x16x32_i8 v[92:95], a[82:83], a[42:43], v[92:95]// 000000003BFC: D3D7005C 1D725552
	buffer_load_dword v48, s[20:23], 0 offen lds               // 000000003C04: E0511000 80050030
	s_add_u32 m0, 0x500, s49                                   // 000000003C0C: 807C31FF 00000500
	v_mfma_i32_16x16x32_i8 v[92:95], a[84:85], a[44:45], v[92:95]// 000000003C14: D3D7005C 1D725954
	v_mfma_i32_16x16x32_i8 v[92:95], a[86:87], a[46:47], v[92:95]// 000000003C1C: D3D7005C 1D725D56
	buffer_load_dword v49, s[20:23], 0 offen lds               // 000000003C24: E0511000 80050031
	s_add_u32 m0, 0x600, s49                                   // 000000003C2C: 807C31FF 00000600
	v_mfma_i32_16x16x32_i8 v[96:99], a[80:81], a[48:49], v[96:99]// 000000003C34: D3D70060 1D826150
	v_mfma_i32_16x16x32_i8 v[96:99], a[82:83], a[50:51], v[96:99]// 000000003C3C: D3D70060 1D826552
	buffer_load_dword v50, s[20:23], 0 offen lds               // 000000003C44: E0511000 80050032
	s_add_u32 m0, 0x700, s49                                   // 000000003C4C: 807C31FF 00000700
	v_mfma_i32_16x16x32_i8 v[96:99], a[84:85], a[52:53], v[96:99]// 000000003C54: D3D70060 1D826954
	v_mfma_i32_16x16x32_i8 v[96:99], a[86:87], a[54:55], v[96:99]// 000000003C5C: D3D70060 1D826D56
	buffer_load_dword v51, s[20:23], 0 offen lds               // 000000003C64: E0511000 80050033
	s_add_u32 m0, 0, s48                                       // 000000003C6C: 807C3080
	v_mfma_i32_16x16x32_i8 v[100:103], a[80:81], a[56:57], v[100:103]// 000000003C70: D3D70064 1D927150
	v_mfma_i32_16x16x32_i8 v[100:103], a[82:83], a[58:59], v[100:103]// 000000003C78: D3D70064 1D927552
	v_mfma_i32_16x16x32_i8 v[100:103], a[84:85], a[60:61], v[100:103]// 000000003C80: D3D70064 1D927954
	v_mfma_i32_16x16x32_i8 v[100:103], a[86:87], a[62:63], v[100:103]// 000000003C88: D3D70064 1D927D56
	s_waitcnt vmcnt(16)                                        // 000000003C90: BF8C4F70
	v_mfma_i32_16x16x32_i8 v[104:107], a[88:89], a[32:33], v[104:107]// 000000003C94: D3D70068 1DA24158
	v_mfma_i32_16x16x32_i8 v[104:107], a[90:91], a[34:35], v[104:107]// 000000003C9C: D3D70068 1DA2455A
	v_mfma_i32_16x16x32_i8 v[104:107], a[92:93], a[36:37], v[104:107]// 000000003CA4: D3D70068 1DA2495C
	v_mfma_i32_16x16x32_i8 v[104:107], a[94:95], a[38:39], v[104:107]// 000000003CAC: D3D70068 1DA24D5E
	v_mfma_i32_16x16x32_i8 v[108:111], a[88:89], a[40:41], v[108:111]// 000000003CB4: D3D7006C 1DB25158
	v_mfma_i32_16x16x32_i8 v[108:111], a[90:91], a[42:43], v[108:111]// 000000003CBC: D3D7006C 1DB2555A
	v_mfma_i32_16x16x32_i8 v[108:111], a[92:93], a[44:45], v[108:111]// 000000003CC4: D3D7006C 1DB2595C
	v_mfma_i32_16x16x32_i8 v[108:111], a[94:95], a[46:47], v[108:111]// 000000003CCC: D3D7006C 1DB25D5E
	v_mfma_i32_16x16x32_i8 v[112:115], a[88:89], a[48:49], v[112:115]// 000000003CD4: D3D70070 1DC26158
	v_mfma_i32_16x16x32_i8 v[112:115], a[90:91], a[50:51], v[112:115]// 000000003CDC: D3D70070 1DC2655A
	v_mfma_i32_16x16x32_i8 v[112:115], a[92:93], a[52:53], v[112:115]// 000000003CE4: D3D70070 1DC2695C
	v_mfma_i32_16x16x32_i8 v[112:115], a[94:95], a[54:55], v[112:115]// 000000003CEC: D3D70070 1DC26D5E
	v_mfma_i32_16x16x32_i8 v[116:119], a[88:89], a[56:57], v[116:119]// 000000003CF4: D3D70074 1DD27158
	v_mfma_i32_16x16x32_i8 v[116:119], a[90:91], a[58:59], v[116:119]// 000000003CFC: D3D70074 1DD2755A
	s_add_u32 s60, 0x80, s80                                   // 000000003D04: 803C50FF 00000080
	s_cmp_lt_u32 s60, s81                                      // 000000003D0C: BF0A513C
	s_cselect_b32 s83, s83, 0                                  // 000000003D10: 85538053
	v_mfma_i32_16x16x32_i8 v[116:119], a[92:93], a[60:61], v[116:119]// 000000003D14: D3D70074 1DD2795C
	v_mfma_i32_16x16x32_i8 v[116:119], a[94:95], a[62:63], v[116:119]// 000000003D1C: D3D70074 1DD27D5E
	s_waitcnt vmcnt(8)                                         // 000000003D24: BF8C0F78
	v_mfma_i32_16x16x32_i8 v[120:123], a[96:97], a[32:33], v[120:123]// 000000003D28: D3D70078 1DE24160
	v_mfma_i32_16x16x32_i8 v[120:123], a[98:99], a[34:35], v[120:123]// 000000003D30: D3D70078 1DE24562
	buffer_load_dwordx4 a[64:67], v52, s[24:27], 0 offen       // 000000003D38: E05C1000 80864034
	v_mfma_i32_16x16x32_i8 v[120:123], a[100:101], a[36:37], v[120:123]// 000000003D40: D3D70078 1DE24964
	v_mfma_i32_16x16x32_i8 v[120:123], a[102:103], a[38:39], v[120:123]// 000000003D48: D3D70078 1DE24D66
	ds_read_b128 a[0:3], v2                                    // 000000003D50: DBFE0000 00000002
	ds_read_b128 a[4:7], v2 offset:64                          // 000000003D58: DBFE0040 04000002
	v_mfma_i32_16x16x32_i8 v[136:139], a[104:105], a[32:33], v[136:139]// 000000003D60: D3D70088 1E224168
	v_mfma_i32_16x16x32_i8 v[136:139], a[106:107], a[34:35], v[136:139]// 000000003D68: D3D70088 1E22456A
	buffer_load_dwordx4 a[68:71], v52, s[24:27], 0 offen offset:1024// 000000003D70: E05C1400 80864434
	v_mfma_i32_16x16x32_i8 v[136:139], a[108:109], a[36:37], v[136:139]// 000000003D78: D3D70088 1E22496C
	v_mfma_i32_16x16x32_i8 v[136:139], a[110:111], a[38:39], v[136:139]// 000000003D80: D3D70088 1E224D6E
	ds_read_b128 a[8:11], v2 offset:512                        // 000000003D88: DBFE0200 08000002
	ds_read_b128 a[12:15], v2 offset:576                       // 000000003D90: DBFE0240 0C000002
	v_mfma_i32_16x16x32_i8 v[152:155], a[112:113], a[32:33], v[152:155]// 000000003D98: D3D70098 1E624170
	v_mfma_i32_16x16x32_i8 v[152:155], a[114:115], a[34:35], v[152:155]// 000000003DA0: D3D70098 1E624572
	buffer_load_dwordx4 a[72:75], v53, s[24:27], 0 offen       // 000000003DA8: E05C1000 80864835
	v_mfma_i32_16x16x32_i8 v[152:155], a[116:117], a[36:37], v[152:155]// 000000003DB0: D3D70098 1E624974
	v_mfma_i32_16x16x32_i8 v[152:155], a[118:119], a[38:39], v[152:155]// 000000003DB8: D3D70098 1E624D76
	ds_read_b128 a[16:19], v2 offset:1024                      // 000000003DC0: DBFE0400 10000002
	ds_read_b128 a[20:23], v2 offset:1088                      // 000000003DC8: DBFE0440 14000002
	v_mfma_i32_16x16x32_i8 v[168:171], a[120:121], a[32:33], v[168:171]// 000000003DD0: D3D700A8 1EA24178
	v_mfma_i32_16x16x32_i8 v[168:171], a[122:123], a[34:35], v[168:171]// 000000003DD8: D3D700A8 1EA2457A
	buffer_load_dwordx4 a[76:79], v53, s[24:27], 0 offen offset:1024// 000000003DE0: E05C1400 80864C35
	v_mfma_i32_16x16x32_i8 v[168:171], a[124:125], a[36:37], v[168:171]// 000000003DE8: D3D700A8 1EA2497C
	v_mfma_i32_16x16x32_i8 v[168:171], a[126:127], a[38:39], v[168:171]// 000000003DF0: D3D700A8 1EA24D7E
	ds_read_b128 a[24:27], v2 offset:1536                      // 000000003DF8: DBFE0600 18000002
	ds_read_b128 a[28:31], v2 offset:1600                      // 000000003E00: DBFE0640 1C000002
	v_mfma_i32_16x16x32_i8 v[124:127], a[96:97], a[40:41], v[124:127]// 000000003E08: D3D7007C 1DF25160
	v_mfma_i32_16x16x32_i8 v[124:127], a[98:99], a[42:43], v[124:127]// 000000003E10: D3D7007C 1DF25562
	buffer_load_dwordx4 a[80:83], v54, s[24:27], 0 offen       // 000000003E18: E05C1000 80865036
	v_mfma_i32_16x16x32_i8 v[124:127], a[100:101], a[44:45], v[124:127]// 000000003E20: D3D7007C 1DF25964
	v_mfma_i32_16x16x32_i8 v[124:127], a[102:103], a[46:47], v[124:127]// 000000003E28: D3D7007C 1DF25D66
	v_mfma_i32_16x16x32_i8 v[140:143], a[104:105], a[40:41], v[140:143]// 000000003E30: D3D7008C 1E325168
	v_mfma_i32_16x16x32_i8 v[140:143], a[106:107], a[42:43], v[140:143]// 000000003E38: D3D7008C 1E32556A
	buffer_load_dwordx4 a[84:87], v54, s[24:27], 0 offen offset:1024// 000000003E40: E05C1400 80865436
	v_mfma_i32_16x16x32_i8 v[140:143], a[108:109], a[44:45], v[140:143]// 000000003E48: D3D7008C 1E32596C
	v_mfma_i32_16x16x32_i8 v[140:143], a[110:111], a[46:47], v[140:143]// 000000003E50: D3D7008C 1E325D6E
	v_mfma_i32_16x16x32_i8 v[156:159], a[112:113], a[40:41], v[156:159]// 000000003E58: D3D7009C 1E725170
	v_mfma_i32_16x16x32_i8 v[156:159], a[114:115], a[42:43], v[156:159]// 000000003E60: D3D7009C 1E725572
	buffer_load_dwordx4 a[88:91], v55, s[24:27], 0 offen       // 000000003E68: E05C1000 80865837
	v_mfma_i32_16x16x32_i8 v[156:159], a[116:117], a[44:45], v[156:159]// 000000003E70: D3D7009C 1E725974
	v_mfma_i32_16x16x32_i8 v[156:159], a[118:119], a[46:47], v[156:159]// 000000003E78: D3D7009C 1E725D76
	v_mfma_i32_16x16x32_i8 v[172:175], a[120:121], a[40:41], v[172:175]// 000000003E80: D3D700AC 1EB25178
	v_mfma_i32_16x16x32_i8 v[172:175], a[122:123], a[42:43], v[172:175]// 000000003E88: D3D700AC 1EB2557A
	buffer_load_dwordx4 a[92:95], v55, s[24:27], 0 offen offset:1024// 000000003E90: E05C1400 80865C37
	v_mfma_i32_16x16x32_i8 v[172:175], a[124:125], a[44:45], v[172:175]// 000000003E98: D3D700AC 1EB2597C
	v_mfma_i32_16x16x32_i8 v[172:175], a[126:127], a[46:47], v[172:175]// 000000003EA0: D3D700AC 1EB25D7E
	v_mfma_i32_16x16x32_i8 v[128:131], a[96:97], a[48:49], v[128:131]// 000000003EA8: D3D70080 1E026160
	v_mfma_i32_16x16x32_i8 v[128:131], a[98:99], a[50:51], v[128:131]// 000000003EB0: D3D70080 1E026562
	v_mfma_i32_16x16x32_i8 v[128:131], a[100:101], a[52:53], v[128:131]// 000000003EB8: D3D70080 1E026964
	v_mfma_i32_16x16x32_i8 v[128:131], a[102:103], a[54:55], v[128:131]// 000000003EC0: D3D70080 1E026D66
	v_mfma_i32_16x16x32_i8 v[144:147], a[104:105], a[48:49], v[144:147]// 000000003EC8: D3D70090 1E426168
	v_mfma_i32_16x16x32_i8 v[144:147], a[106:107], a[50:51], v[144:147]// 000000003ED0: D3D70090 1E42656A
	v_mfma_i32_16x16x32_i8 v[144:147], a[108:109], a[52:53], v[144:147]// 000000003ED8: D3D70090 1E42696C
	v_mfma_i32_16x16x32_i8 v[144:147], a[110:111], a[54:55], v[144:147]// 000000003EE0: D3D70090 1E426D6E
	v_mfma_i32_16x16x32_i8 v[160:163], a[112:113], a[48:49], v[160:163]// 000000003EE8: D3D700A0 1E826170
	v_mfma_i32_16x16x32_i8 v[160:163], a[114:115], a[50:51], v[160:163]// 000000003EF0: D3D700A0 1E826572
	v_mfma_i32_16x16x32_i8 v[160:163], a[116:117], a[52:53], v[160:163]// 000000003EF8: D3D700A0 1E826974
	v_mfma_i32_16x16x32_i8 v[160:163], a[118:119], a[54:55], v[160:163]// 000000003F00: D3D700A0 1E826D76
	v_mfma_i32_16x16x32_i8 v[176:179], a[120:121], a[48:49], v[176:179]// 000000003F08: D3D700B0 1EC26178
	v_mfma_i32_16x16x32_i8 v[176:179], a[122:123], a[50:51], v[176:179]// 000000003F10: D3D700B0 1EC2657A
	v_mfma_i32_16x16x32_i8 v[176:179], a[124:125], a[52:53], v[176:179]// 000000003F18: D3D700B0 1EC2697C
	v_mfma_i32_16x16x32_i8 v[176:179], a[126:127], a[54:55], v[176:179]// 000000003F20: D3D700B0 1EC26D7E
	v_mfma_i32_16x16x32_i8 v[132:135], a[96:97], a[56:57], v[132:135]// 000000003F28: D3D70084 1E127160
	v_mfma_i32_16x16x32_i8 v[132:135], a[98:99], a[58:59], v[132:135]// 000000003F30: D3D70084 1E127562
	v_mfma_i32_16x16x32_i8 v[132:135], a[100:101], a[60:61], v[132:135]// 000000003F38: D3D70084 1E127964
	v_mfma_i32_16x16x32_i8 v[132:135], a[102:103], a[62:63], v[132:135]// 000000003F40: D3D70084 1E127D66
	v_mfma_i32_16x16x32_i8 v[148:151], a[104:105], a[56:57], v[148:151]// 000000003F48: D3D70094 1E527168
	v_mfma_i32_16x16x32_i8 v[148:151], a[106:107], a[58:59], v[148:151]// 000000003F50: D3D70094 1E52756A
	v_mfma_i32_16x16x32_i8 v[148:151], a[108:109], a[60:61], v[148:151]// 000000003F58: D3D70094 1E52796C
	v_mfma_i32_16x16x32_i8 v[148:151], a[110:111], a[62:63], v[148:151]// 000000003F60: D3D70094 1E527D6E
	v_mfma_i32_16x16x32_i8 v[164:167], a[112:113], a[56:57], v[164:167]// 000000003F68: D3D700A4 1E927170
	v_mfma_i32_16x16x32_i8 v[164:167], a[114:115], a[58:59], v[164:167]// 000000003F70: D3D700A4 1E927572
	v_mfma_i32_16x16x32_i8 v[164:167], a[116:117], a[60:61], v[164:167]// 000000003F78: D3D700A4 1E927974
	s_add_u32 s60, 0x180, s80                                  // 000000003F80: 803C50FF 00000180
	s_cmp_lt_u32 s60, s81                                      // 000000003F88: BF0A513C
	s_cselect_b32 s57, s57, 0                                  // 000000003F8C: 85398039
	v_mfma_i32_16x16x32_i8 v[164:167], a[118:119], a[62:63], v[164:167]// 000000003F90: D3D700A4 1E927D76
	s_add_u32 s60, 0x100, s80                                  // 000000003F98: 803C50FF 00000100
	s_cmp_lt_u32 s60, s81                                      // 000000003FA0: BF0A513C
	s_cselect_b32 s58, s58, 0                                  // 000000003FA4: 853A803A
	v_mfma_i32_16x16x32_i8 v[180:183], a[120:121], a[56:57], v[180:183]// 000000003FA8: D3D700B4 1ED27178
	s_add_u32 s24, s58, s24                                    // 000000003FB0: 8018183A
	s_addc_u32 s25, 0, s25                                     // 000000003FB4: 82191980
	v_mfma_i32_16x16x32_i8 v[180:183], a[122:123], a[58:59], v[180:183]// 000000003FB8: D3D700B4 1ED2757A
	s_add_u32 s20, s57, s20                                    // 000000003FC0: 80141439
	s_addc_u32 s21, 0, s21                                     // 000000003FC4: 82151580
	v_mfma_i32_16x16x32_i8 v[180:183], a[124:125], a[60:61], v[180:183]// 000000003FC8: D3D700B4 1ED2797C
	s_add_u32 s84, s83, s84                                    // 000000003FD0: 80545453
	s_addc_u32 s85, 0, s85                                     // 000000003FD4: 82555580
	v_mfma_i32_16x16x32_i8 v[180:183], a[126:127], a[62:63], v[180:183]// 000000003FD8: D3D700B4 1ED27D7E
	s_addk_i32 s80, 0x80                                       // 000000003FE0: B7500080
	s_cmp_lt_i32 s80, s81                                      // 000000003FE4: BF045150
	s_cbranch_scc0 label_057C                                  // 000000003FE8: BF840001
	s_branch label_02A7                                        // 000000003FEC: BF82FD2B

0000000000003ff0 <label_057C>:
	v_cvt_f32_i32_e32 v56, v56                                 // 000000003FF0: 7E700B38
	v_cvt_f32_i32_e32 v57, v57                                 // 000000003FF4: 7E720B39
	v_cvt_f32_i32_e32 v58, v58                                 // 000000003FF8: 7E740B3A
	v_cvt_f32_i32_e32 v59, v59                                 // 000000003FFC: 7E760B3B
	v_mul_f32_dpp v56, v24, v56 row_newbcast:0 row_mask:0xf bank_mask:0xf// 000000004000: 0A7070FA FF015018
	v_mul_f32_dpp v57, v24, v57 row_newbcast:1 row_mask:0xf bank_mask:0xf// 000000004008: 0A7272FA FF015118
	v_mul_f32_dpp v58, v24, v58 row_newbcast:2 row_mask:0xf bank_mask:0xf// 000000004010: 0A7474FA FF015218
	v_mul_f32_dpp v59, v24, v59 row_newbcast:3 row_mask:0xf bank_mask:0xf// 000000004018: 0A7676FA FF015318
	v_cvt_f32_i32_e32 v60, v60                                 // 000000004020: 7E780B3C
	v_cvt_f32_i32_e32 v61, v61                                 // 000000004024: 7E7A0B3D
	v_cvt_f32_i32_e32 v62, v62                                 // 000000004028: 7E7C0B3E
	v_cvt_f32_i32_e32 v63, v63                                 // 00000000402C: 7E7E0B3F
	v_mul_f32_dpp v60, v24, v60 row_newbcast:0 row_mask:0xf bank_mask:0xf// 000000004030: 0A7878FA FF015018
	v_mul_f32_dpp v61, v24, v61 row_newbcast:1 row_mask:0xf bank_mask:0xf// 000000004038: 0A7A7AFA FF015118
	v_mul_f32_dpp v62, v24, v62 row_newbcast:2 row_mask:0xf bank_mask:0xf// 000000004040: 0A7C7CFA FF015218
	v_mul_f32_dpp v63, v24, v63 row_newbcast:3 row_mask:0xf bank_mask:0xf// 000000004048: 0A7E7EFA FF015318
	v_cvt_f32_i32_e32 v64, v64                                 // 000000004050: 7E800B40
	v_cvt_f32_i32_e32 v65, v65                                 // 000000004054: 7E820B41
	v_cvt_f32_i32_e32 v66, v66                                 // 000000004058: 7E840B42
	v_cvt_f32_i32_e32 v67, v67                                 // 00000000405C: 7E860B43
	v_mul_f32_dpp v64, v24, v64 row_newbcast:0 row_mask:0xf bank_mask:0xf// 000000004060: 0A8080FA FF015018
	v_mul_f32_dpp v65, v24, v65 row_newbcast:1 row_mask:0xf bank_mask:0xf// 000000004068: 0A8282FA FF015118
	v_mul_f32_dpp v66, v24, v66 row_newbcast:2 row_mask:0xf bank_mask:0xf// 000000004070: 0A8484FA FF015218
	v_mul_f32_dpp v67, v24, v67 row_newbcast:3 row_mask:0xf bank_mask:0xf// 000000004078: 0A8686FA FF015318
	v_cvt_f32_i32_e32 v68, v68                                 // 000000004080: 7E880B44
	v_cvt_f32_i32_e32 v69, v69                                 // 000000004084: 7E8A0B45
	v_cvt_f32_i32_e32 v70, v70                                 // 000000004088: 7E8C0B46
	v_cvt_f32_i32_e32 v71, v71                                 // 00000000408C: 7E8E0B47
	v_mul_f32_dpp v68, v24, v68 row_newbcast:0 row_mask:0xf bank_mask:0xf// 000000004090: 0A8888FA FF015018
	v_mul_f32_dpp v69, v24, v69 row_newbcast:1 row_mask:0xf bank_mask:0xf// 000000004098: 0A8A8AFA FF015118
	v_mul_f32_dpp v70, v24, v70 row_newbcast:2 row_mask:0xf bank_mask:0xf// 0000000040A0: 0A8C8CFA FF015218
	v_mul_f32_dpp v71, v24, v71 row_newbcast:3 row_mask:0xf bank_mask:0xf// 0000000040A8: 0A8E8EFA FF015318
	v_cvt_f32_i32_e32 v72, v72                                 // 0000000040B0: 7E900B48
	v_cvt_f32_i32_e32 v73, v73                                 // 0000000040B4: 7E920B49
	v_cvt_f32_i32_e32 v74, v74                                 // 0000000040B8: 7E940B4A
	v_cvt_f32_i32_e32 v75, v75                                 // 0000000040BC: 7E960B4B
	v_mul_f32_dpp v72, v24, v72 row_newbcast:4 row_mask:0xf bank_mask:0xf// 0000000040C0: 0A9090FA FF015418
	v_mul_f32_dpp v73, v24, v73 row_newbcast:5 row_mask:0xf bank_mask:0xf// 0000000040C8: 0A9292FA FF015518
	v_mul_f32_dpp v74, v24, v74 row_newbcast:6 row_mask:0xf bank_mask:0xf// 0000000040D0: 0A9494FA FF015618
	v_mul_f32_dpp v75, v24, v75 row_newbcast:7 row_mask:0xf bank_mask:0xf// 0000000040D8: 0A9696FA FF015718
	v_cvt_f32_i32_e32 v76, v76                                 // 0000000040E0: 7E980B4C
	v_cvt_f32_i32_e32 v77, v77                                 // 0000000040E4: 7E9A0B4D
	v_cvt_f32_i32_e32 v78, v78                                 // 0000000040E8: 7E9C0B4E
	v_cvt_f32_i32_e32 v79, v79                                 // 0000000040EC: 7E9E0B4F
	v_mul_f32_dpp v76, v24, v76 row_newbcast:4 row_mask:0xf bank_mask:0xf// 0000000040F0: 0A9898FA FF015418
	v_mul_f32_dpp v77, v24, v77 row_newbcast:5 row_mask:0xf bank_mask:0xf// 0000000040F8: 0A9A9AFA FF015518
	v_mul_f32_dpp v78, v24, v78 row_newbcast:6 row_mask:0xf bank_mask:0xf// 000000004100: 0A9C9CFA FF015618
	v_mul_f32_dpp v79, v24, v79 row_newbcast:7 row_mask:0xf bank_mask:0xf// 000000004108: 0A9E9EFA FF015718
	v_cvt_f32_i32_e32 v80, v80                                 // 000000004110: 7EA00B50
	v_cvt_f32_i32_e32 v81, v81                                 // 000000004114: 7EA20B51
	v_cvt_f32_i32_e32 v82, v82                                 // 000000004118: 7EA40B52
	v_cvt_f32_i32_e32 v83, v83                                 // 00000000411C: 7EA60B53
	v_mul_f32_dpp v80, v24, v80 row_newbcast:4 row_mask:0xf bank_mask:0xf// 000000004120: 0AA0A0FA FF015418
	v_mul_f32_dpp v81, v24, v81 row_newbcast:5 row_mask:0xf bank_mask:0xf// 000000004128: 0AA2A2FA FF015518
	v_mul_f32_dpp v82, v24, v82 row_newbcast:6 row_mask:0xf bank_mask:0xf// 000000004130: 0AA4A4FA FF015618
	v_mul_f32_dpp v83, v24, v83 row_newbcast:7 row_mask:0xf bank_mask:0xf// 000000004138: 0AA6A6FA FF015718
	v_cvt_f32_i32_e32 v84, v84                                 // 000000004140: 7EA80B54
	v_cvt_f32_i32_e32 v85, v85                                 // 000000004144: 7EAA0B55
	v_cvt_f32_i32_e32 v86, v86                                 // 000000004148: 7EAC0B56
	v_cvt_f32_i32_e32 v87, v87                                 // 00000000414C: 7EAE0B57
	v_mul_f32_dpp v84, v24, v84 row_newbcast:4 row_mask:0xf bank_mask:0xf// 000000004150: 0AA8A8FA FF015418
	v_mul_f32_dpp v85, v24, v85 row_newbcast:5 row_mask:0xf bank_mask:0xf// 000000004158: 0AAAAAFA FF015518
	v_mul_f32_dpp v86, v24, v86 row_newbcast:6 row_mask:0xf bank_mask:0xf// 000000004160: 0AACACFA FF015618
	v_mul_f32_dpp v87, v24, v87 row_newbcast:7 row_mask:0xf bank_mask:0xf// 000000004168: 0AAEAEFA FF015718
	v_cvt_f32_i32_e32 v88, v88                                 // 000000004170: 7EB00B58
	v_cvt_f32_i32_e32 v89, v89                                 // 000000004174: 7EB20B59
	v_cvt_f32_i32_e32 v90, v90                                 // 000000004178: 7EB40B5A
	v_cvt_f32_i32_e32 v91, v91                                 // 00000000417C: 7EB60B5B
	v_mul_f32_dpp v88, v24, v88 row_newbcast:8 row_mask:0xf bank_mask:0xf// 000000004180: 0AB0B0FA FF015818
	v_mul_f32_dpp v89, v24, v89 row_newbcast:9 row_mask:0xf bank_mask:0xf// 000000004188: 0AB2B2FA FF015918
	v_mul_f32_dpp v90, v24, v90 row_newbcast:10 row_mask:0xf bank_mask:0xf// 000000004190: 0AB4B4FA FF015A18
	v_mul_f32_dpp v91, v24, v91 row_newbcast:11 row_mask:0xf bank_mask:0xf// 000000004198: 0AB6B6FA FF015B18
	v_cvt_f32_i32_e32 v92, v92                                 // 0000000041A0: 7EB80B5C
	v_cvt_f32_i32_e32 v93, v93                                 // 0000000041A4: 7EBA0B5D
	v_cvt_f32_i32_e32 v94, v94                                 // 0000000041A8: 7EBC0B5E
	v_cvt_f32_i32_e32 v95, v95                                 // 0000000041AC: 7EBE0B5F
	v_mul_f32_dpp v92, v24, v92 row_newbcast:8 row_mask:0xf bank_mask:0xf// 0000000041B0: 0AB8B8FA FF015818
	v_mul_f32_dpp v93, v24, v93 row_newbcast:9 row_mask:0xf bank_mask:0xf// 0000000041B8: 0ABABAFA FF015918
	v_mul_f32_dpp v94, v24, v94 row_newbcast:10 row_mask:0xf bank_mask:0xf// 0000000041C0: 0ABCBCFA FF015A18
	v_mul_f32_dpp v95, v24, v95 row_newbcast:11 row_mask:0xf bank_mask:0xf// 0000000041C8: 0ABEBEFA FF015B18
	v_cvt_f32_i32_e32 v96, v96                                 // 0000000041D0: 7EC00B60
	v_cvt_f32_i32_e32 v97, v97                                 // 0000000041D4: 7EC20B61
	v_cvt_f32_i32_e32 v98, v98                                 // 0000000041D8: 7EC40B62
	v_cvt_f32_i32_e32 v99, v99                                 // 0000000041DC: 7EC60B63
	v_mul_f32_dpp v96, v24, v96 row_newbcast:8 row_mask:0xf bank_mask:0xf// 0000000041E0: 0AC0C0FA FF015818
	v_mul_f32_dpp v97, v24, v97 row_newbcast:9 row_mask:0xf bank_mask:0xf// 0000000041E8: 0AC2C2FA FF015918
	v_mul_f32_dpp v98, v24, v98 row_newbcast:10 row_mask:0xf bank_mask:0xf// 0000000041F0: 0AC4C4FA FF015A18
	v_mul_f32_dpp v99, v24, v99 row_newbcast:11 row_mask:0xf bank_mask:0xf// 0000000041F8: 0AC6C6FA FF015B18
	v_cvt_f32_i32_e32 v100, v100                               // 000000004200: 7EC80B64
	v_cvt_f32_i32_e32 v101, v101                               // 000000004204: 7ECA0B65
	v_cvt_f32_i32_e32 v102, v102                               // 000000004208: 7ECC0B66
	v_cvt_f32_i32_e32 v103, v103                               // 00000000420C: 7ECE0B67
	v_mul_f32_dpp v100, v24, v100 row_newbcast:8 row_mask:0xf bank_mask:0xf// 000000004210: 0AC8C8FA FF015818
	v_mul_f32_dpp v101, v24, v101 row_newbcast:9 row_mask:0xf bank_mask:0xf// 000000004218: 0ACACAFA FF015918
	v_mul_f32_dpp v102, v24, v102 row_newbcast:10 row_mask:0xf bank_mask:0xf// 000000004220: 0ACCCCFA FF015A18
	v_mul_f32_dpp v103, v24, v103 row_newbcast:11 row_mask:0xf bank_mask:0xf// 000000004228: 0ACECEFA FF015B18
	v_cvt_f32_i32_e32 v104, v104                               // 000000004230: 7ED00B68
	v_cvt_f32_i32_e32 v105, v105                               // 000000004234: 7ED20B69
	v_cvt_f32_i32_e32 v106, v106                               // 000000004238: 7ED40B6A
	v_cvt_f32_i32_e32 v107, v107                               // 00000000423C: 7ED60B6B
	v_mul_f32_dpp v104, v24, v104 row_newbcast:12 row_mask:0xf bank_mask:0xf// 000000004240: 0AD0D0FA FF015C18
	v_mul_f32_dpp v105, v24, v105 row_newbcast:13 row_mask:0xf bank_mask:0xf// 000000004248: 0AD2D2FA FF015D18
	v_mul_f32_dpp v106, v24, v106 row_newbcast:14 row_mask:0xf bank_mask:0xf// 000000004250: 0AD4D4FA FF015E18
	v_mul_f32_dpp v107, v24, v107 row_newbcast:15 row_mask:0xf bank_mask:0xf// 000000004258: 0AD6D6FA FF015F18
	v_cvt_f32_i32_e32 v108, v108                               // 000000004260: 7ED80B6C
	v_cvt_f32_i32_e32 v109, v109                               // 000000004264: 7EDA0B6D
	v_cvt_f32_i32_e32 v110, v110                               // 000000004268: 7EDC0B6E
	v_cvt_f32_i32_e32 v111, v111                               // 00000000426C: 7EDE0B6F
	v_mul_f32_dpp v108, v24, v108 row_newbcast:12 row_mask:0xf bank_mask:0xf// 000000004270: 0AD8D8FA FF015C18
	v_mul_f32_dpp v109, v24, v109 row_newbcast:13 row_mask:0xf bank_mask:0xf// 000000004278: 0ADADAFA FF015D18
	v_mul_f32_dpp v110, v24, v110 row_newbcast:14 row_mask:0xf bank_mask:0xf// 000000004280: 0ADCDCFA FF015E18
	v_mul_f32_dpp v111, v24, v111 row_newbcast:15 row_mask:0xf bank_mask:0xf// 000000004288: 0ADEDEFA FF015F18
	v_cvt_f32_i32_e32 v112, v112                               // 000000004290: 7EE00B70
	v_cvt_f32_i32_e32 v113, v113                               // 000000004294: 7EE20B71
	v_cvt_f32_i32_e32 v114, v114                               // 000000004298: 7EE40B72
	v_cvt_f32_i32_e32 v115, v115                               // 00000000429C: 7EE60B73
	v_mul_f32_dpp v112, v24, v112 row_newbcast:12 row_mask:0xf bank_mask:0xf// 0000000042A0: 0AE0E0FA FF015C18
	v_mul_f32_dpp v113, v24, v113 row_newbcast:13 row_mask:0xf bank_mask:0xf// 0000000042A8: 0AE2E2FA FF015D18
	v_mul_f32_dpp v114, v24, v114 row_newbcast:14 row_mask:0xf bank_mask:0xf// 0000000042B0: 0AE4E4FA FF015E18
	v_mul_f32_dpp v115, v24, v115 row_newbcast:15 row_mask:0xf bank_mask:0xf// 0000000042B8: 0AE6E6FA FF015F18
	v_cvt_f32_i32_e32 v116, v116                               // 0000000042C0: 7EE80B74
	v_cvt_f32_i32_e32 v117, v117                               // 0000000042C4: 7EEA0B75
	v_cvt_f32_i32_e32 v118, v118                               // 0000000042C8: 7EEC0B76
	v_cvt_f32_i32_e32 v119, v119                               // 0000000042CC: 7EEE0B77
	v_mul_f32_dpp v116, v24, v116 row_newbcast:12 row_mask:0xf bank_mask:0xf// 0000000042D0: 0AE8E8FA FF015C18
	v_mul_f32_dpp v117, v24, v117 row_newbcast:13 row_mask:0xf bank_mask:0xf// 0000000042D8: 0AEAEAFA FF015D18
	v_mul_f32_dpp v118, v24, v118 row_newbcast:14 row_mask:0xf bank_mask:0xf// 0000000042E0: 0AECECFA FF015E18
	v_mul_f32_dpp v119, v24, v119 row_newbcast:15 row_mask:0xf bank_mask:0xf// 0000000042E8: 0AEEEEFA FF015F18
	v_cvt_f32_i32_e32 v120, v120                               // 0000000042F0: 7EF00B78
	v_cvt_f32_i32_e32 v121, v121                               // 0000000042F4: 7EF20B79
	v_cvt_f32_i32_e32 v122, v122                               // 0000000042F8: 7EF40B7A
	v_cvt_f32_i32_e32 v123, v123                               // 0000000042FC: 7EF60B7B
	v_mul_f32_dpp v120, v26, v120 row_newbcast:0 row_mask:0xf bank_mask:0xf// 000000004300: 0AF0F0FA FF01501A
	v_mul_f32_dpp v121, v26, v121 row_newbcast:1 row_mask:0xf bank_mask:0xf// 000000004308: 0AF2F2FA FF01511A
	v_mul_f32_dpp v122, v26, v122 row_newbcast:2 row_mask:0xf bank_mask:0xf// 000000004310: 0AF4F4FA FF01521A
	v_mul_f32_dpp v123, v26, v123 row_newbcast:3 row_mask:0xf bank_mask:0xf// 000000004318: 0AF6F6FA FF01531A
	v_cvt_f32_i32_e32 v124, v124                               // 000000004320: 7EF80B7C
	v_cvt_f32_i32_e32 v125, v125                               // 000000004324: 7EFA0B7D
	v_cvt_f32_i32_e32 v126, v126                               // 000000004328: 7EFC0B7E
	v_cvt_f32_i32_e32 v127, v127                               // 00000000432C: 7EFE0B7F
	v_mul_f32_dpp v124, v26, v124 row_newbcast:0 row_mask:0xf bank_mask:0xf// 000000004330: 0AF8F8FA FF01501A
	v_mul_f32_dpp v125, v26, v125 row_newbcast:1 row_mask:0xf bank_mask:0xf// 000000004338: 0AFAFAFA FF01511A
	v_mul_f32_dpp v126, v26, v126 row_newbcast:2 row_mask:0xf bank_mask:0xf// 000000004340: 0AFCFCFA FF01521A
	v_mul_f32_dpp v127, v26, v127 row_newbcast:3 row_mask:0xf bank_mask:0xf// 000000004348: 0AFEFEFA FF01531A
	v_cvt_f32_i32_e32 v128, v128                               // 000000004350: 7F000B80
	v_cvt_f32_i32_e32 v129, v129                               // 000000004354: 7F020B81
	v_cvt_f32_i32_e32 v130, v130                               // 000000004358: 7F040B82
	v_cvt_f32_i32_e32 v131, v131                               // 00000000435C: 7F060B83
	v_mul_f32_dpp v128, v26, v128 row_newbcast:0 row_mask:0xf bank_mask:0xf// 000000004360: 0B0100FA FF01501A
	v_mul_f32_dpp v129, v26, v129 row_newbcast:1 row_mask:0xf bank_mask:0xf// 000000004368: 0B0302FA FF01511A
	v_mul_f32_dpp v130, v26, v130 row_newbcast:2 row_mask:0xf bank_mask:0xf// 000000004370: 0B0504FA FF01521A
	v_mul_f32_dpp v131, v26, v131 row_newbcast:3 row_mask:0xf bank_mask:0xf// 000000004378: 0B0706FA FF01531A
	v_cvt_f32_i32_e32 v132, v132                               // 000000004380: 7F080B84
	v_cvt_f32_i32_e32 v133, v133                               // 000000004384: 7F0A0B85
	v_cvt_f32_i32_e32 v134, v134                               // 000000004388: 7F0C0B86
	v_cvt_f32_i32_e32 v135, v135                               // 00000000438C: 7F0E0B87
	v_mul_f32_dpp v132, v26, v132 row_newbcast:0 row_mask:0xf bank_mask:0xf// 000000004390: 0B0908FA FF01501A
	v_mul_f32_dpp v133, v26, v133 row_newbcast:1 row_mask:0xf bank_mask:0xf// 000000004398: 0B0B0AFA FF01511A
	v_mul_f32_dpp v134, v26, v134 row_newbcast:2 row_mask:0xf bank_mask:0xf// 0000000043A0: 0B0D0CFA FF01521A
	v_mul_f32_dpp v135, v26, v135 row_newbcast:3 row_mask:0xf bank_mask:0xf// 0000000043A8: 0B0F0EFA FF01531A
	v_cvt_f32_i32_e32 v136, v136                               // 0000000043B0: 7F100B88
	v_cvt_f32_i32_e32 v137, v137                               // 0000000043B4: 7F120B89
	v_cvt_f32_i32_e32 v138, v138                               // 0000000043B8: 7F140B8A
	v_cvt_f32_i32_e32 v139, v139                               // 0000000043BC: 7F160B8B
	v_mul_f32_dpp v136, v26, v136 row_newbcast:4 row_mask:0xf bank_mask:0xf// 0000000043C0: 0B1110FA FF01541A
	v_mul_f32_dpp v137, v26, v137 row_newbcast:5 row_mask:0xf bank_mask:0xf// 0000000043C8: 0B1312FA FF01551A
	v_mul_f32_dpp v138, v26, v138 row_newbcast:6 row_mask:0xf bank_mask:0xf// 0000000043D0: 0B1514FA FF01561A
	v_mul_f32_dpp v139, v26, v139 row_newbcast:7 row_mask:0xf bank_mask:0xf// 0000000043D8: 0B1716FA FF01571A
	v_cvt_f32_i32_e32 v140, v140                               // 0000000043E0: 7F180B8C
	v_cvt_f32_i32_e32 v141, v141                               // 0000000043E4: 7F1A0B8D
	v_cvt_f32_i32_e32 v142, v142                               // 0000000043E8: 7F1C0B8E
	v_cvt_f32_i32_e32 v143, v143                               // 0000000043EC: 7F1E0B8F
	v_mul_f32_dpp v140, v26, v140 row_newbcast:4 row_mask:0xf bank_mask:0xf// 0000000043F0: 0B1918FA FF01541A
	v_mul_f32_dpp v141, v26, v141 row_newbcast:5 row_mask:0xf bank_mask:0xf// 0000000043F8: 0B1B1AFA FF01551A
	v_mul_f32_dpp v142, v26, v142 row_newbcast:6 row_mask:0xf bank_mask:0xf// 000000004400: 0B1D1CFA FF01561A
	v_mul_f32_dpp v143, v26, v143 row_newbcast:7 row_mask:0xf bank_mask:0xf// 000000004408: 0B1F1EFA FF01571A
	v_cvt_f32_i32_e32 v144, v144                               // 000000004410: 7F200B90
	v_cvt_f32_i32_e32 v145, v145                               // 000000004414: 7F220B91
	v_cvt_f32_i32_e32 v146, v146                               // 000000004418: 7F240B92
	v_cvt_f32_i32_e32 v147, v147                               // 00000000441C: 7F260B93
	v_mul_f32_dpp v144, v26, v144 row_newbcast:4 row_mask:0xf bank_mask:0xf// 000000004420: 0B2120FA FF01541A
	v_mul_f32_dpp v145, v26, v145 row_newbcast:5 row_mask:0xf bank_mask:0xf// 000000004428: 0B2322FA FF01551A
	v_mul_f32_dpp v146, v26, v146 row_newbcast:6 row_mask:0xf bank_mask:0xf// 000000004430: 0B2524FA FF01561A
	v_mul_f32_dpp v147, v26, v147 row_newbcast:7 row_mask:0xf bank_mask:0xf// 000000004438: 0B2726FA FF01571A
	v_cvt_f32_i32_e32 v148, v148                               // 000000004440: 7F280B94
	v_cvt_f32_i32_e32 v149, v149                               // 000000004444: 7F2A0B95
	v_cvt_f32_i32_e32 v150, v150                               // 000000004448: 7F2C0B96
	v_cvt_f32_i32_e32 v151, v151                               // 00000000444C: 7F2E0B97
	v_mul_f32_dpp v148, v26, v148 row_newbcast:4 row_mask:0xf bank_mask:0xf// 000000004450: 0B2928FA FF01541A
	v_mul_f32_dpp v149, v26, v149 row_newbcast:5 row_mask:0xf bank_mask:0xf// 000000004458: 0B2B2AFA FF01551A
	v_mul_f32_dpp v150, v26, v150 row_newbcast:6 row_mask:0xf bank_mask:0xf// 000000004460: 0B2D2CFA FF01561A
	v_mul_f32_dpp v151, v26, v151 row_newbcast:7 row_mask:0xf bank_mask:0xf// 000000004468: 0B2F2EFA FF01571A
	v_cvt_f32_i32_e32 v152, v152                               // 000000004470: 7F300B98
	v_cvt_f32_i32_e32 v153, v153                               // 000000004474: 7F320B99
	v_cvt_f32_i32_e32 v154, v154                               // 000000004478: 7F340B9A
	v_cvt_f32_i32_e32 v155, v155                               // 00000000447C: 7F360B9B
	v_mul_f32_dpp v152, v26, v152 row_newbcast:8 row_mask:0xf bank_mask:0xf// 000000004480: 0B3130FA FF01581A
	v_mul_f32_dpp v153, v26, v153 row_newbcast:9 row_mask:0xf bank_mask:0xf// 000000004488: 0B3332FA FF01591A
	v_mul_f32_dpp v154, v26, v154 row_newbcast:10 row_mask:0xf bank_mask:0xf// 000000004490: 0B3534FA FF015A1A
	v_mul_f32_dpp v155, v26, v155 row_newbcast:11 row_mask:0xf bank_mask:0xf// 000000004498: 0B3736FA FF015B1A
	v_cvt_f32_i32_e32 v156, v156                               // 0000000044A0: 7F380B9C
	v_cvt_f32_i32_e32 v157, v157                               // 0000000044A4: 7F3A0B9D
	v_cvt_f32_i32_e32 v158, v158                               // 0000000044A8: 7F3C0B9E
	v_cvt_f32_i32_e32 v159, v159                               // 0000000044AC: 7F3E0B9F
	v_mul_f32_dpp v156, v26, v156 row_newbcast:8 row_mask:0xf bank_mask:0xf// 0000000044B0: 0B3938FA FF01581A
	v_mul_f32_dpp v157, v26, v157 row_newbcast:9 row_mask:0xf bank_mask:0xf// 0000000044B8: 0B3B3AFA FF01591A
	v_mul_f32_dpp v158, v26, v158 row_newbcast:10 row_mask:0xf bank_mask:0xf// 0000000044C0: 0B3D3CFA FF015A1A
	v_mul_f32_dpp v159, v26, v159 row_newbcast:11 row_mask:0xf bank_mask:0xf// 0000000044C8: 0B3F3EFA FF015B1A
	v_cvt_f32_i32_e32 v160, v160                               // 0000000044D0: 7F400BA0
	v_cvt_f32_i32_e32 v161, v161                               // 0000000044D4: 7F420BA1
	v_cvt_f32_i32_e32 v162, v162                               // 0000000044D8: 7F440BA2
	v_cvt_f32_i32_e32 v163, v163                               // 0000000044DC: 7F460BA3
	v_mul_f32_dpp v160, v26, v160 row_newbcast:8 row_mask:0xf bank_mask:0xf// 0000000044E0: 0B4140FA FF01581A
	v_mul_f32_dpp v161, v26, v161 row_newbcast:9 row_mask:0xf bank_mask:0xf// 0000000044E8: 0B4342FA FF01591A
	v_mul_f32_dpp v162, v26, v162 row_newbcast:10 row_mask:0xf bank_mask:0xf// 0000000044F0: 0B4544FA FF015A1A
	v_mul_f32_dpp v163, v26, v163 row_newbcast:11 row_mask:0xf bank_mask:0xf// 0000000044F8: 0B4746FA FF015B1A
	v_cvt_f32_i32_e32 v164, v164                               // 000000004500: 7F480BA4
	v_cvt_f32_i32_e32 v165, v165                               // 000000004504: 7F4A0BA5
	v_cvt_f32_i32_e32 v166, v166                               // 000000004508: 7F4C0BA6
	v_cvt_f32_i32_e32 v167, v167                               // 00000000450C: 7F4E0BA7
	v_mul_f32_dpp v164, v26, v164 row_newbcast:8 row_mask:0xf bank_mask:0xf// 000000004510: 0B4948FA FF01581A
	v_mul_f32_dpp v165, v26, v165 row_newbcast:9 row_mask:0xf bank_mask:0xf// 000000004518: 0B4B4AFA FF01591A
	v_mul_f32_dpp v166, v26, v166 row_newbcast:10 row_mask:0xf bank_mask:0xf// 000000004520: 0B4D4CFA FF015A1A
	v_mul_f32_dpp v167, v26, v167 row_newbcast:11 row_mask:0xf bank_mask:0xf// 000000004528: 0B4F4EFA FF015B1A
	v_cvt_f32_i32_e32 v168, v168                               // 000000004530: 7F500BA8
	v_cvt_f32_i32_e32 v169, v169                               // 000000004534: 7F520BA9
	v_cvt_f32_i32_e32 v170, v170                               // 000000004538: 7F540BAA
	v_cvt_f32_i32_e32 v171, v171                               // 00000000453C: 7F560BAB
	v_mul_f32_dpp v168, v26, v168 row_newbcast:12 row_mask:0xf bank_mask:0xf// 000000004540: 0B5150FA FF015C1A
	v_mul_f32_dpp v169, v26, v169 row_newbcast:13 row_mask:0xf bank_mask:0xf// 000000004548: 0B5352FA FF015D1A
	v_mul_f32_dpp v170, v26, v170 row_newbcast:14 row_mask:0xf bank_mask:0xf// 000000004550: 0B5554FA FF015E1A
	v_mul_f32_dpp v171, v26, v171 row_newbcast:15 row_mask:0xf bank_mask:0xf// 000000004558: 0B5756FA FF015F1A
	v_cvt_f32_i32_e32 v172, v172                               // 000000004560: 7F580BAC
	v_cvt_f32_i32_e32 v173, v173                               // 000000004564: 7F5A0BAD
	v_cvt_f32_i32_e32 v174, v174                               // 000000004568: 7F5C0BAE
	v_cvt_f32_i32_e32 v175, v175                               // 00000000456C: 7F5E0BAF
	v_mul_f32_dpp v172, v26, v172 row_newbcast:12 row_mask:0xf bank_mask:0xf// 000000004570: 0B5958FA FF015C1A
	v_mul_f32_dpp v173, v26, v173 row_newbcast:13 row_mask:0xf bank_mask:0xf// 000000004578: 0B5B5AFA FF015D1A
	v_mul_f32_dpp v174, v26, v174 row_newbcast:14 row_mask:0xf bank_mask:0xf// 000000004580: 0B5D5CFA FF015E1A
	v_mul_f32_dpp v175, v26, v175 row_newbcast:15 row_mask:0xf bank_mask:0xf// 000000004588: 0B5F5EFA FF015F1A
	v_cvt_f32_i32_e32 v176, v176                               // 000000004590: 7F600BB0
	v_cvt_f32_i32_e32 v177, v177                               // 000000004594: 7F620BB1
	v_cvt_f32_i32_e32 v178, v178                               // 000000004598: 7F640BB2
	v_cvt_f32_i32_e32 v179, v179                               // 00000000459C: 7F660BB3
	v_mul_f32_dpp v176, v26, v176 row_newbcast:12 row_mask:0xf bank_mask:0xf// 0000000045A0: 0B6160FA FF015C1A
	v_mul_f32_dpp v177, v26, v177 row_newbcast:13 row_mask:0xf bank_mask:0xf// 0000000045A8: 0B6362FA FF015D1A
	v_mul_f32_dpp v178, v26, v178 row_newbcast:14 row_mask:0xf bank_mask:0xf// 0000000045B0: 0B6564FA FF015E1A
	v_mul_f32_dpp v179, v26, v179 row_newbcast:15 row_mask:0xf bank_mask:0xf// 0000000045B8: 0B6766FA FF015F1A
	v_cvt_f32_i32_e32 v180, v180                               // 0000000045C0: 7F680BB4
	v_cvt_f32_i32_e32 v181, v181                               // 0000000045C4: 7F6A0BB5
	v_cvt_f32_i32_e32 v182, v182                               // 0000000045C8: 7F6C0BB6
	v_cvt_f32_i32_e32 v183, v183                               // 0000000045CC: 7F6E0BB7
	v_mul_f32_dpp v180, v26, v180 row_newbcast:12 row_mask:0xf bank_mask:0xf// 0000000045D0: 0B6968FA FF015C1A
	v_mul_f32_dpp v181, v26, v181 row_newbcast:13 row_mask:0xf bank_mask:0xf// 0000000045D8: 0B6B6AFA FF015D1A
	v_mul_f32_dpp v182, v26, v182 row_newbcast:14 row_mask:0xf bank_mask:0xf// 0000000045E0: 0B6D6CFA FF015E1A
	v_mul_f32_dpp v183, v26, v183 row_newbcast:15 row_mask:0xf bank_mask:0xf// 0000000045E8: 0B6F6EFA FF015F1A
	v_mov_b32_e32 v4, v32                                      // 0000000045F0: 7E080320
	v_mov_b32_e32 v5, v4                                       // 0000000045F4: 7E0A0304
	v_pk_mul_f32 v[56:57], v[4:5], v[56:57]                    // 0000000045F8: D3B14038 18027104
	v_pk_mul_f32 v[120:121], v[4:5], v[120:121]                // 000000004600: D3B14078 1802F104
	v_pk_mul_f32 v[58:59], v[4:5], v[58:59]                    // 000000004608: D3B1403A 18027504
	v_pk_mul_f32 v[122:123], v[4:5], v[122:123]                // 000000004610: D3B1407A 1802F504
	v_pk_mul_f32 v[72:73], v[4:5], v[72:73]                    // 000000004618: D3B14048 18029104
	v_pk_mul_f32 v[136:137], v[4:5], v[136:137]                // 000000004620: D3B14088 18031104
	v_pk_mul_f32 v[74:75], v[4:5], v[74:75]                    // 000000004628: D3B1404A 18029504
	v_pk_mul_f32 v[138:139], v[4:5], v[138:139]                // 000000004630: D3B1408A 18031504
	v_pk_mul_f32 v[88:89], v[4:5], v[88:89]                    // 000000004638: D3B14058 1802B104
	v_pk_mul_f32 v[152:153], v[4:5], v[152:153]                // 000000004640: D3B14098 18033104
	v_pk_mul_f32 v[90:91], v[4:5], v[90:91]                    // 000000004648: D3B1405A 1802B504
	v_pk_mul_f32 v[154:155], v[4:5], v[154:155]                // 000000004650: D3B1409A 18033504
	v_pk_mul_f32 v[104:105], v[4:5], v[104:105]                // 000000004658: D3B14068 1802D104
	v_pk_mul_f32 v[168:169], v[4:5], v[168:169]                // 000000004660: D3B140A8 18035104
	v_pk_mul_f32 v[106:107], v[4:5], v[106:107]                // 000000004668: D3B1406A 1802D504
	v_pk_mul_f32 v[170:171], v[4:5], v[170:171]                // 000000004670: D3B140AA 18035504
	v_mov_b32_e32 v4, v33                                      // 000000004678: 7E080321
	v_mov_b32_e32 v5, v4                                       // 00000000467C: 7E0A0304
	v_pk_mul_f32 v[60:61], v[4:5], v[60:61]                    // 000000004680: D3B1403C 18027904
	v_pk_mul_f32 v[124:125], v[4:5], v[124:125]                // 000000004688: D3B1407C 1802F904
	v_pk_mul_f32 v[62:63], v[4:5], v[62:63]                    // 000000004690: D3B1403E 18027D04
	v_pk_mul_f32 v[126:127], v[4:5], v[126:127]                // 000000004698: D3B1407E 1802FD04
	v_pk_mul_f32 v[76:77], v[4:5], v[76:77]                    // 0000000046A0: D3B1404C 18029904
	v_pk_mul_f32 v[140:141], v[4:5], v[140:141]                // 0000000046A8: D3B1408C 18031904
	v_pk_mul_f32 v[78:79], v[4:5], v[78:79]                    // 0000000046B0: D3B1404E 18029D04
	v_pk_mul_f32 v[142:143], v[4:5], v[142:143]                // 0000000046B8: D3B1408E 18031D04
	v_pk_mul_f32 v[92:93], v[4:5], v[92:93]                    // 0000000046C0: D3B1405C 1802B904
	v_pk_mul_f32 v[156:157], v[4:5], v[156:157]                // 0000000046C8: D3B1409C 18033904
	v_pk_mul_f32 v[94:95], v[4:5], v[94:95]                    // 0000000046D0: D3B1405E 1802BD04
	v_pk_mul_f32 v[158:159], v[4:5], v[158:159]                // 0000000046D8: D3B1409E 18033D04
	v_pk_mul_f32 v[108:109], v[4:5], v[108:109]                // 0000000046E0: D3B1406C 1802D904
	v_pk_mul_f32 v[172:173], v[4:5], v[172:173]                // 0000000046E8: D3B140AC 18035904
	v_pk_mul_f32 v[110:111], v[4:5], v[110:111]                // 0000000046F0: D3B1406E 1802DD04
	v_pk_mul_f32 v[174:175], v[4:5], v[174:175]                // 0000000046F8: D3B140AE 18035D04
	v_mov_b32_e32 v4, v34                                      // 000000004700: 7E080322
	v_mov_b32_e32 v5, v4                                       // 000000004704: 7E0A0304
	v_pk_mul_f32 v[64:65], v[4:5], v[64:65]                    // 000000004708: D3B14040 18028104
	v_pk_mul_f32 v[128:129], v[4:5], v[128:129]                // 000000004710: D3B14080 18030104
	v_pk_mul_f32 v[66:67], v[4:5], v[66:67]                    // 000000004718: D3B14042 18028504
	v_pk_mul_f32 v[130:131], v[4:5], v[130:131]                // 000000004720: D3B14082 18030504
	v_pk_mul_f32 v[80:81], v[4:5], v[80:81]                    // 000000004728: D3B14050 1802A104
	v_pk_mul_f32 v[144:145], v[4:5], v[144:145]                // 000000004730: D3B14090 18032104
	v_pk_mul_f32 v[82:83], v[4:5], v[82:83]                    // 000000004738: D3B14052 1802A504
	v_pk_mul_f32 v[146:147], v[4:5], v[146:147]                // 000000004740: D3B14092 18032504
	v_pk_mul_f32 v[96:97], v[4:5], v[96:97]                    // 000000004748: D3B14060 1802C104
	v_pk_mul_f32 v[160:161], v[4:5], v[160:161]                // 000000004750: D3B140A0 18034104
	v_pk_mul_f32 v[98:99], v[4:5], v[98:99]                    // 000000004758: D3B14062 1802C504
	v_pk_mul_f32 v[162:163], v[4:5], v[162:163]                // 000000004760: D3B140A2 18034504
	v_pk_mul_f32 v[112:113], v[4:5], v[112:113]                // 000000004768: D3B14070 1802E104
	v_pk_mul_f32 v[176:177], v[4:5], v[176:177]                // 000000004770: D3B140B0 18036104
	v_pk_mul_f32 v[114:115], v[4:5], v[114:115]                // 000000004778: D3B14072 1802E504
	v_pk_mul_f32 v[178:179], v[4:5], v[178:179]                // 000000004780: D3B140B2 18036504
	v_mov_b32_e32 v4, v35                                      // 000000004788: 7E080323
	v_mov_b32_e32 v5, v4                                       // 00000000478C: 7E0A0304
	v_pk_mul_f32 v[68:69], v[4:5], v[68:69]                    // 000000004790: D3B14044 18028904
	v_pk_mul_f32 v[132:133], v[4:5], v[132:133]                // 000000004798: D3B14084 18030904
	v_pk_mul_f32 v[70:71], v[4:5], v[70:71]                    // 0000000047A0: D3B14046 18028D04
	v_pk_mul_f32 v[134:135], v[4:5], v[134:135]                // 0000000047A8: D3B14086 18030D04
	v_pk_mul_f32 v[84:85], v[4:5], v[84:85]                    // 0000000047B0: D3B14054 1802A904
	v_pk_mul_f32 v[148:149], v[4:5], v[148:149]                // 0000000047B8: D3B14094 18032904
	v_pk_mul_f32 v[86:87], v[4:5], v[86:87]                    // 0000000047C0: D3B14056 1802AD04
	v_pk_mul_f32 v[150:151], v[4:5], v[150:151]                // 0000000047C8: D3B14096 18032D04
	v_pk_mul_f32 v[100:101], v[4:5], v[100:101]                // 0000000047D0: D3B14064 1802C904
	v_pk_mul_f32 v[164:165], v[4:5], v[164:165]                // 0000000047D8: D3B140A4 18034904
	v_pk_mul_f32 v[102:103], v[4:5], v[102:103]                // 0000000047E0: D3B14066 1802CD04
	v_pk_mul_f32 v[166:167], v[4:5], v[166:167]                // 0000000047E8: D3B140A6 18034D04
	v_pk_mul_f32 v[116:117], v[4:5], v[116:117]                // 0000000047F0: D3B14074 1802E904
	v_pk_mul_f32 v[180:181], v[4:5], v[180:181]                // 0000000047F8: D3B140B4 18036904
	v_pk_mul_f32 v[118:119], v[4:5], v[118:119]                // 000000004800: D3B14076 1802ED04
	v_pk_mul_f32 v[182:183], v[4:5], v[182:183]                // 000000004808: D3B140B6 18036D04
	s_cmp_eq_u32 s88, 0                                        // 000000004810: BF068058
	s_cbranch_scc0 label_0FB7                                  // 000000004814: BF840831
	s_cmp_eq_u32 s89, 0                                        // 000000004818: BF068059
	s_cbranch_scc1 label_0A0D                                  // 00000000481C: BF850285
	v_mov_b32_e32 v8, v1                                       // 000000004820: 7E100301
	v_mov_b32_e32 v9, v1                                       // 000000004824: 7E120301
	s_mov_b32 s60, s6                                          // 000000004828: BEBC0006
	s_mov_b32 s61, s6                                          // 00000000482C: BEBD0006
	v_pk_mul_f32 v[4:5], v[56:57], v[56:57]                    // 000000004830: D3B14004 18027138
	v_pk_mul_f32 v[6:7], v[58:59], v[58:59]                    // 000000004838: D3B14006 1802753A
	v_pk_fma_f32 v[4:5], v[4:5], s[78:79], v[8:9]              // 000000004840: D3B04004 1C209D04
	v_pk_fma_f32 v[6:7], v[6:7], s[78:79], v[8:9]              // 000000004848: D3B04006 1C209D06
	v_pk_mul_f32 v[4:5], v[4:5], v[56:57]                      // 000000004850: D3B14004 18027104
	v_pk_mul_f32 v[6:7], v[6:7], v[58:59]                      // 000000004858: D3B14006 18027506
	v_pk_mul_f32 v[4:5], v[4:5], s[60:61]                      // 000000004860: D3B14004 18007904
	v_pk_mul_f32 v[6:7], v[6:7], s[60:61]                      // 000000004868: D3B14006 18007906
	v_exp_f32_e32 v4, v4                                       // 000000004870: 7E084104
	v_exp_f32_e32 v5, v5                                       // 000000004874: 7E0A4105
	v_exp_f32_e32 v6, v6                                       // 000000004878: 7E0C4106
	v_exp_f32_e32 v7, v7                                       // 00000000487C: 7E0E4107
	v_add_f32_e64 v4, v4, 1.0                                  // 000000004880: D1010004 0001E504
	v_add_f32_e64 v5, v5, 1.0                                  // 000000004888: D1010005 0001E505
	v_add_f32_e64 v6, v6, 1.0                                  // 000000004890: D1010006 0001E506
	v_add_f32_e64 v7, v7, 1.0                                  // 000000004898: D1010007 0001E507
	v_rcp_f32_e32 v4, v4                                       // 0000000048A0: 7E084504
	v_rcp_f32_e32 v5, v5                                       // 0000000048A4: 7E0A4505
	v_rcp_f32_e32 v6, v6                                       // 0000000048A8: 7E0C4506
	v_rcp_f32_e32 v7, v7                                       // 0000000048AC: 7E0E4507
	v_mul_f32_e32 v56, v56, v4                                 // 0000000048B0: 0A700938
	v_mul_f32_e32 v57, v57, v5                                 // 0000000048B4: 0A720B39
	v_mul_f32_e32 v58, v58, v6                                 // 0000000048B8: 0A740D3A
	v_mul_f32_e32 v59, v59, v7                                 // 0000000048BC: 0A760F3B
	v_mul_f32_e32 v56, v56, v120                               // 0000000048C0: 0A70F138
	v_mul_f32_e32 v57, v57, v121                               // 0000000048C4: 0A72F339
	v_mul_f32_e32 v58, v58, v122                               // 0000000048C8: 0A74F53A
	v_mul_f32_e32 v59, v59, v123                               // 0000000048CC: 0A76F73B
	v_pk_mul_f32 v[4:5], v[60:61], v[60:61]                    // 0000000048D0: D3B14004 1802793C
	v_pk_mul_f32 v[6:7], v[62:63], v[62:63]                    // 0000000048D8: D3B14006 18027D3E
	v_pk_fma_f32 v[4:5], v[4:5], s[78:79], v[8:9]              // 0000000048E0: D3B04004 1C209D04
	v_pk_fma_f32 v[6:7], v[6:7], s[78:79], v[8:9]              // 0000000048E8: D3B04006 1C209D06
	v_pk_mul_f32 v[4:5], v[4:5], v[60:61]                      // 0000000048F0: D3B14004 18027904
	v_pk_mul_f32 v[6:7], v[6:7], v[62:63]                      // 0000000048F8: D3B14006 18027D06
	v_pk_mul_f32 v[4:5], v[4:5], s[60:61]                      // 000000004900: D3B14004 18007904
	v_pk_mul_f32 v[6:7], v[6:7], s[60:61]                      // 000000004908: D3B14006 18007906
	v_exp_f32_e32 v4, v4                                       // 000000004910: 7E084104
	v_exp_f32_e32 v5, v5                                       // 000000004914: 7E0A4105
	v_exp_f32_e32 v6, v6                                       // 000000004918: 7E0C4106
	v_exp_f32_e32 v7, v7                                       // 00000000491C: 7E0E4107
	v_add_f32_e64 v4, v4, 1.0                                  // 000000004920: D1010004 0001E504
	v_add_f32_e64 v5, v5, 1.0                                  // 000000004928: D1010005 0001E505
	v_add_f32_e64 v6, v6, 1.0                                  // 000000004930: D1010006 0001E506
	v_add_f32_e64 v7, v7, 1.0                                  // 000000004938: D1010007 0001E507
	v_rcp_f32_e32 v4, v4                                       // 000000004940: 7E084504
	v_rcp_f32_e32 v5, v5                                       // 000000004944: 7E0A4505
	v_rcp_f32_e32 v6, v6                                       // 000000004948: 7E0C4506
	v_rcp_f32_e32 v7, v7                                       // 00000000494C: 7E0E4507
	v_mul_f32_e32 v60, v60, v4                                 // 000000004950: 0A78093C
	v_mul_f32_e32 v61, v61, v5                                 // 000000004954: 0A7A0B3D
	v_mul_f32_e32 v62, v62, v6                                 // 000000004958: 0A7C0D3E
	v_mul_f32_e32 v63, v63, v7                                 // 00000000495C: 0A7E0F3F
	v_mul_f32_e32 v60, v60, v124                               // 000000004960: 0A78F93C
	v_mul_f32_e32 v61, v61, v125                               // 000000004964: 0A7AFB3D
	v_mul_f32_e32 v62, v62, v126                               // 000000004968: 0A7CFD3E
	v_mul_f32_e32 v63, v63, v127                               // 00000000496C: 0A7EFF3F
	v_pk_mul_f32 v[4:5], v[64:65], v[64:65]                    // 000000004970: D3B14004 18028140
	v_pk_mul_f32 v[6:7], v[66:67], v[66:67]                    // 000000004978: D3B14006 18028542
	v_pk_fma_f32 v[4:5], v[4:5], s[78:79], v[8:9]              // 000000004980: D3B04004 1C209D04
	v_pk_fma_f32 v[6:7], v[6:7], s[78:79], v[8:9]              // 000000004988: D3B04006 1C209D06
	v_pk_mul_f32 v[4:5], v[4:5], v[64:65]                      // 000000004990: D3B14004 18028104
	v_pk_mul_f32 v[6:7], v[6:7], v[66:67]                      // 000000004998: D3B14006 18028506
	v_pk_mul_f32 v[4:5], v[4:5], s[60:61]                      // 0000000049A0: D3B14004 18007904
	v_pk_mul_f32 v[6:7], v[6:7], s[60:61]                      // 0000000049A8: D3B14006 18007906
	v_exp_f32_e32 v4, v4                                       // 0000000049B0: 7E084104
	v_exp_f32_e32 v5, v5                                       // 0000000049B4: 7E0A4105
	v_exp_f32_e32 v6, v6                                       // 0000000049B8: 7E0C4106
	v_exp_f32_e32 v7, v7                                       // 0000000049BC: 7E0E4107
	v_add_f32_e64 v4, v4, 1.0                                  // 0000000049C0: D1010004 0001E504
	v_add_f32_e64 v5, v5, 1.0                                  // 0000000049C8: D1010005 0001E505
	v_add_f32_e64 v6, v6, 1.0                                  // 0000000049D0: D1010006 0001E506
	v_add_f32_e64 v7, v7, 1.0                                  // 0000000049D8: D1010007 0001E507
	v_rcp_f32_e32 v4, v4                                       // 0000000049E0: 7E084504
	v_rcp_f32_e32 v5, v5                                       // 0000000049E4: 7E0A4505
	v_rcp_f32_e32 v6, v6                                       // 0000000049E8: 7E0C4506
	v_rcp_f32_e32 v7, v7                                       // 0000000049EC: 7E0E4507
	v_mul_f32_e32 v64, v64, v4                                 // 0000000049F0: 0A800940
	v_mul_f32_e32 v65, v65, v5                                 // 0000000049F4: 0A820B41
	v_mul_f32_e32 v66, v66, v6                                 // 0000000049F8: 0A840D42
	v_mul_f32_e32 v67, v67, v7                                 // 0000000049FC: 0A860F43
	v_mul_f32_e32 v64, v64, v128                               // 000000004A00: 0A810140
	v_mul_f32_e32 v65, v65, v129                               // 000000004A04: 0A830341
	v_mul_f32_e32 v66, v66, v130                               // 000000004A08: 0A850542
	v_mul_f32_e32 v67, v67, v131                               // 000000004A0C: 0A870743
	v_pk_mul_f32 v[4:5], v[68:69], v[68:69]                    // 000000004A10: D3B14004 18028944
	v_pk_mul_f32 v[6:7], v[70:71], v[70:71]                    // 000000004A18: D3B14006 18028D46
	v_pk_fma_f32 v[4:5], v[4:5], s[78:79], v[8:9]              // 000000004A20: D3B04004 1C209D04
	v_pk_fma_f32 v[6:7], v[6:7], s[78:79], v[8:9]              // 000000004A28: D3B04006 1C209D06
	v_pk_mul_f32 v[4:5], v[4:5], v[68:69]                      // 000000004A30: D3B14004 18028904
	v_pk_mul_f32 v[6:7], v[6:7], v[70:71]                      // 000000004A38: D3B14006 18028D06
	v_pk_mul_f32 v[4:5], v[4:5], s[60:61]                      // 000000004A40: D3B14004 18007904
	v_pk_mul_f32 v[6:7], v[6:7], s[60:61]                      // 000000004A48: D3B14006 18007906
	v_exp_f32_e32 v4, v4                                       // 000000004A50: 7E084104
	v_exp_f32_e32 v5, v5                                       // 000000004A54: 7E0A4105
	v_exp_f32_e32 v6, v6                                       // 000000004A58: 7E0C4106
	v_exp_f32_e32 v7, v7                                       // 000000004A5C: 7E0E4107
	v_add_f32_e64 v4, v4, 1.0                                  // 000000004A60: D1010004 0001E504
	v_add_f32_e64 v5, v5, 1.0                                  // 000000004A68: D1010005 0001E505
	v_add_f32_e64 v6, v6, 1.0                                  // 000000004A70: D1010006 0001E506
	v_add_f32_e64 v7, v7, 1.0                                  // 000000004A78: D1010007 0001E507
	v_rcp_f32_e32 v4, v4                                       // 000000004A80: 7E084504
	v_rcp_f32_e32 v5, v5                                       // 000000004A84: 7E0A4505
	v_rcp_f32_e32 v6, v6                                       // 000000004A88: 7E0C4506
	v_rcp_f32_e32 v7, v7                                       // 000000004A8C: 7E0E4507
	v_mul_f32_e32 v68, v68, v4                                 // 000000004A90: 0A880944
	v_mul_f32_e32 v69, v69, v5                                 // 000000004A94: 0A8A0B45
	v_mul_f32_e32 v70, v70, v6                                 // 000000004A98: 0A8C0D46
	v_mul_f32_e32 v71, v71, v7                                 // 000000004A9C: 0A8E0F47
	v_mul_f32_e32 v68, v68, v132                               // 000000004AA0: 0A890944
	v_mul_f32_e32 v69, v69, v133                               // 000000004AA4: 0A8B0B45
	v_mul_f32_e32 v70, v70, v134                               // 000000004AA8: 0A8D0D46
	v_mul_f32_e32 v71, v71, v135                               // 000000004AAC: 0A8F0F47
	v_pk_mul_f32 v[4:5], v[72:73], v[72:73]                    // 000000004AB0: D3B14004 18029148
	v_pk_mul_f32 v[6:7], v[74:75], v[74:75]                    // 000000004AB8: D3B14006 1802954A
	v_pk_fma_f32 v[4:5], v[4:5], s[78:79], v[8:9]              // 000000004AC0: D3B04004 1C209D04
	v_pk_fma_f32 v[6:7], v[6:7], s[78:79], v[8:9]              // 000000004AC8: D3B04006 1C209D06
	v_pk_mul_f32 v[4:5], v[4:5], v[72:73]                      // 000000004AD0: D3B14004 18029104
	v_pk_mul_f32 v[6:7], v[6:7], v[74:75]                      // 000000004AD8: D3B14006 18029506
	v_pk_mul_f32 v[4:5], v[4:5], s[60:61]                      // 000000004AE0: D3B14004 18007904
	v_pk_mul_f32 v[6:7], v[6:7], s[60:61]                      // 000000004AE8: D3B14006 18007906
	v_exp_f32_e32 v4, v4                                       // 000000004AF0: 7E084104
	v_exp_f32_e32 v5, v5                                       // 000000004AF4: 7E0A4105
	v_exp_f32_e32 v6, v6                                       // 000000004AF8: 7E0C4106
	v_exp_f32_e32 v7, v7                                       // 000000004AFC: 7E0E4107
	v_add_f32_e64 v4, v4, 1.0                                  // 000000004B00: D1010004 0001E504
	v_add_f32_e64 v5, v5, 1.0                                  // 000000004B08: D1010005 0001E505
	v_add_f32_e64 v6, v6, 1.0                                  // 000000004B10: D1010006 0001E506
	v_add_f32_e64 v7, v7, 1.0                                  // 000000004B18: D1010007 0001E507
	v_rcp_f32_e32 v4, v4                                       // 000000004B20: 7E084504
	v_rcp_f32_e32 v5, v5                                       // 000000004B24: 7E0A4505
	v_rcp_f32_e32 v6, v6                                       // 000000004B28: 7E0C4506
	v_rcp_f32_e32 v7, v7                                       // 000000004B2C: 7E0E4507
	v_mul_f32_e32 v72, v72, v4                                 // 000000004B30: 0A900948
	v_mul_f32_e32 v73, v73, v5                                 // 000000004B34: 0A920B49
	v_mul_f32_e32 v74, v74, v6                                 // 000000004B38: 0A940D4A
	v_mul_f32_e32 v75, v75, v7                                 // 000000004B3C: 0A960F4B
	v_mul_f32_e32 v72, v72, v136                               // 000000004B40: 0A911148
	v_mul_f32_e32 v73, v73, v137                               // 000000004B44: 0A931349
	v_mul_f32_e32 v74, v74, v138                               // 000000004B48: 0A95154A
	v_mul_f32_e32 v75, v75, v139                               // 000000004B4C: 0A97174B
	v_pk_mul_f32 v[4:5], v[76:77], v[76:77]                    // 000000004B50: D3B14004 1802994C
	v_pk_mul_f32 v[6:7], v[78:79], v[78:79]                    // 000000004B58: D3B14006 18029D4E
	v_pk_fma_f32 v[4:5], v[4:5], s[78:79], v[8:9]              // 000000004B60: D3B04004 1C209D04
	v_pk_fma_f32 v[6:7], v[6:7], s[78:79], v[8:9]              // 000000004B68: D3B04006 1C209D06
	v_pk_mul_f32 v[4:5], v[4:5], v[76:77]                      // 000000004B70: D3B14004 18029904
	v_pk_mul_f32 v[6:7], v[6:7], v[78:79]                      // 000000004B78: D3B14006 18029D06
	v_pk_mul_f32 v[4:5], v[4:5], s[60:61]                      // 000000004B80: D3B14004 18007904
	v_pk_mul_f32 v[6:7], v[6:7], s[60:61]                      // 000000004B88: D3B14006 18007906
	v_exp_f32_e32 v4, v4                                       // 000000004B90: 7E084104
	v_exp_f32_e32 v5, v5                                       // 000000004B94: 7E0A4105
	v_exp_f32_e32 v6, v6                                       // 000000004B98: 7E0C4106
	v_exp_f32_e32 v7, v7                                       // 000000004B9C: 7E0E4107
	v_add_f32_e64 v4, v4, 1.0                                  // 000000004BA0: D1010004 0001E504
	v_add_f32_e64 v5, v5, 1.0                                  // 000000004BA8: D1010005 0001E505
	v_add_f32_e64 v6, v6, 1.0                                  // 000000004BB0: D1010006 0001E506
	v_add_f32_e64 v7, v7, 1.0                                  // 000000004BB8: D1010007 0001E507
	v_rcp_f32_e32 v4, v4                                       // 000000004BC0: 7E084504
	v_rcp_f32_e32 v5, v5                                       // 000000004BC4: 7E0A4505
	v_rcp_f32_e32 v6, v6                                       // 000000004BC8: 7E0C4506
	v_rcp_f32_e32 v7, v7                                       // 000000004BCC: 7E0E4507
	v_mul_f32_e32 v76, v76, v4                                 // 000000004BD0: 0A98094C
	v_mul_f32_e32 v77, v77, v5                                 // 000000004BD4: 0A9A0B4D
	v_mul_f32_e32 v78, v78, v6                                 // 000000004BD8: 0A9C0D4E
	v_mul_f32_e32 v79, v79, v7                                 // 000000004BDC: 0A9E0F4F
	v_mul_f32_e32 v76, v76, v140                               // 000000004BE0: 0A99194C
	v_mul_f32_e32 v77, v77, v141                               // 000000004BE4: 0A9B1B4D
	v_mul_f32_e32 v78, v78, v142                               // 000000004BE8: 0A9D1D4E
	v_mul_f32_e32 v79, v79, v143                               // 000000004BEC: 0A9F1F4F
	v_pk_mul_f32 v[4:5], v[80:81], v[80:81]                    // 000000004BF0: D3B14004 1802A150
	v_pk_mul_f32 v[6:7], v[82:83], v[82:83]                    // 000000004BF8: D3B14006 1802A552
	v_pk_fma_f32 v[4:5], v[4:5], s[78:79], v[8:9]              // 000000004C00: D3B04004 1C209D04
	v_pk_fma_f32 v[6:7], v[6:7], s[78:79], v[8:9]              // 000000004C08: D3B04006 1C209D06
	v_pk_mul_f32 v[4:5], v[4:5], v[80:81]                      // 000000004C10: D3B14004 1802A104
	v_pk_mul_f32 v[6:7], v[6:7], v[82:83]                      // 000000004C18: D3B14006 1802A506
	v_pk_mul_f32 v[4:5], v[4:5], s[60:61]                      // 000000004C20: D3B14004 18007904
	v_pk_mul_f32 v[6:7], v[6:7], s[60:61]                      // 000000004C28: D3B14006 18007906
	v_exp_f32_e32 v4, v4                                       // 000000004C30: 7E084104
	v_exp_f32_e32 v5, v5                                       // 000000004C34: 7E0A4105
	v_exp_f32_e32 v6, v6                                       // 000000004C38: 7E0C4106
	v_exp_f32_e32 v7, v7                                       // 000000004C3C: 7E0E4107
	v_add_f32_e64 v4, v4, 1.0                                  // 000000004C40: D1010004 0001E504
	v_add_f32_e64 v5, v5, 1.0                                  // 000000004C48: D1010005 0001E505
	v_add_f32_e64 v6, v6, 1.0                                  // 000000004C50: D1010006 0001E506
	v_add_f32_e64 v7, v7, 1.0                                  // 000000004C58: D1010007 0001E507
	v_rcp_f32_e32 v4, v4                                       // 000000004C60: 7E084504
	v_rcp_f32_e32 v5, v5                                       // 000000004C64: 7E0A4505
	v_rcp_f32_e32 v6, v6                                       // 000000004C68: 7E0C4506
	v_rcp_f32_e32 v7, v7                                       // 000000004C6C: 7E0E4507
	v_mul_f32_e32 v80, v80, v4                                 // 000000004C70: 0AA00950
	v_mul_f32_e32 v81, v81, v5                                 // 000000004C74: 0AA20B51
	v_mul_f32_e32 v82, v82, v6                                 // 000000004C78: 0AA40D52
	v_mul_f32_e32 v83, v83, v7                                 // 000000004C7C: 0AA60F53
	v_mul_f32_e32 v80, v80, v144                               // 000000004C80: 0AA12150
	v_mul_f32_e32 v81, v81, v145                               // 000000004C84: 0AA32351
	v_mul_f32_e32 v82, v82, v146                               // 000000004C88: 0AA52552
	v_mul_f32_e32 v83, v83, v147                               // 000000004C8C: 0AA72753
	v_pk_mul_f32 v[4:5], v[84:85], v[84:85]                    // 000000004C90: D3B14004 1802A954
	v_pk_mul_f32 v[6:7], v[86:87], v[86:87]                    // 000000004C98: D3B14006 1802AD56
	v_pk_fma_f32 v[4:5], v[4:5], s[78:79], v[8:9]              // 000000004CA0: D3B04004 1C209D04
	v_pk_fma_f32 v[6:7], v[6:7], s[78:79], v[8:9]              // 000000004CA8: D3B04006 1C209D06
	v_pk_mul_f32 v[4:5], v[4:5], v[84:85]                      // 000000004CB0: D3B14004 1802A904
	v_pk_mul_f32 v[6:7], v[6:7], v[86:87]                      // 000000004CB8: D3B14006 1802AD06
	v_pk_mul_f32 v[4:5], v[4:5], s[60:61]                      // 000000004CC0: D3B14004 18007904
	v_pk_mul_f32 v[6:7], v[6:7], s[60:61]                      // 000000004CC8: D3B14006 18007906
	v_exp_f32_e32 v4, v4                                       // 000000004CD0: 7E084104
	v_exp_f32_e32 v5, v5                                       // 000000004CD4: 7E0A4105
	v_exp_f32_e32 v6, v6                                       // 000000004CD8: 7E0C4106
	v_exp_f32_e32 v7, v7                                       // 000000004CDC: 7E0E4107
	v_add_f32_e64 v4, v4, 1.0                                  // 000000004CE0: D1010004 0001E504
	v_add_f32_e64 v5, v5, 1.0                                  // 000000004CE8: D1010005 0001E505
	v_add_f32_e64 v6, v6, 1.0                                  // 000000004CF0: D1010006 0001E506
	v_add_f32_e64 v7, v7, 1.0                                  // 000000004CF8: D1010007 0001E507
	v_rcp_f32_e32 v4, v4                                       // 000000004D00: 7E084504
	v_rcp_f32_e32 v5, v5                                       // 000000004D04: 7E0A4505
	v_rcp_f32_e32 v6, v6                                       // 000000004D08: 7E0C4506
	v_rcp_f32_e32 v7, v7                                       // 000000004D0C: 7E0E4507
	v_mul_f32_e32 v84, v84, v4                                 // 000000004D10: 0AA80954
	v_mul_f32_e32 v85, v85, v5                                 // 000000004D14: 0AAA0B55
	v_mul_f32_e32 v86, v86, v6                                 // 000000004D18: 0AAC0D56
	v_mul_f32_e32 v87, v87, v7                                 // 000000004D1C: 0AAE0F57
	v_mul_f32_e32 v84, v84, v148                               // 000000004D20: 0AA92954
	v_mul_f32_e32 v85, v85, v149                               // 000000004D24: 0AAB2B55
	v_mul_f32_e32 v86, v86, v150                               // 000000004D28: 0AAD2D56
	v_mul_f32_e32 v87, v87, v151                               // 000000004D2C: 0AAF2F57
	v_pk_mul_f32 v[4:5], v[88:89], v[88:89]                    // 000000004D30: D3B14004 1802B158
	v_pk_mul_f32 v[6:7], v[90:91], v[90:91]                    // 000000004D38: D3B14006 1802B55A
	v_pk_fma_f32 v[4:5], v[4:5], s[78:79], v[8:9]              // 000000004D40: D3B04004 1C209D04
	v_pk_fma_f32 v[6:7], v[6:7], s[78:79], v[8:9]              // 000000004D48: D3B04006 1C209D06
	v_pk_mul_f32 v[4:5], v[4:5], v[88:89]                      // 000000004D50: D3B14004 1802B104
	v_pk_mul_f32 v[6:7], v[6:7], v[90:91]                      // 000000004D58: D3B14006 1802B506
	v_pk_mul_f32 v[4:5], v[4:5], s[60:61]                      // 000000004D60: D3B14004 18007904
	v_pk_mul_f32 v[6:7], v[6:7], s[60:61]                      // 000000004D68: D3B14006 18007906
	v_exp_f32_e32 v4, v4                                       // 000000004D70: 7E084104
	v_exp_f32_e32 v5, v5                                       // 000000004D74: 7E0A4105
	v_exp_f32_e32 v6, v6                                       // 000000004D78: 7E0C4106
	v_exp_f32_e32 v7, v7                                       // 000000004D7C: 7E0E4107
	v_add_f32_e64 v4, v4, 1.0                                  // 000000004D80: D1010004 0001E504
	v_add_f32_e64 v5, v5, 1.0                                  // 000000004D88: D1010005 0001E505
	v_add_f32_e64 v6, v6, 1.0                                  // 000000004D90: D1010006 0001E506
	v_add_f32_e64 v7, v7, 1.0                                  // 000000004D98: D1010007 0001E507
	v_rcp_f32_e32 v4, v4                                       // 000000004DA0: 7E084504
	v_rcp_f32_e32 v5, v5                                       // 000000004DA4: 7E0A4505
	v_rcp_f32_e32 v6, v6                                       // 000000004DA8: 7E0C4506
	v_rcp_f32_e32 v7, v7                                       // 000000004DAC: 7E0E4507
	v_mul_f32_e32 v88, v88, v4                                 // 000000004DB0: 0AB00958
	v_mul_f32_e32 v89, v89, v5                                 // 000000004DB4: 0AB20B59
	v_mul_f32_e32 v90, v90, v6                                 // 000000004DB8: 0AB40D5A
	v_mul_f32_e32 v91, v91, v7                                 // 000000004DBC: 0AB60F5B
	v_mul_f32_e32 v88, v88, v152                               // 000000004DC0: 0AB13158
	v_mul_f32_e32 v89, v89, v153                               // 000000004DC4: 0AB33359
	v_mul_f32_e32 v90, v90, v154                               // 000000004DC8: 0AB5355A
	v_mul_f32_e32 v91, v91, v155                               // 000000004DCC: 0AB7375B
	v_pk_mul_f32 v[4:5], v[92:93], v[92:93]                    // 000000004DD0: D3B14004 1802B95C
	v_pk_mul_f32 v[6:7], v[94:95], v[94:95]                    // 000000004DD8: D3B14006 1802BD5E
	v_pk_fma_f32 v[4:5], v[4:5], s[78:79], v[8:9]              // 000000004DE0: D3B04004 1C209D04
	v_pk_fma_f32 v[6:7], v[6:7], s[78:79], v[8:9]              // 000000004DE8: D3B04006 1C209D06
	v_pk_mul_f32 v[4:5], v[4:5], v[92:93]                      // 000000004DF0: D3B14004 1802B904
	v_pk_mul_f32 v[6:7], v[6:7], v[94:95]                      // 000000004DF8: D3B14006 1802BD06
	v_pk_mul_f32 v[4:5], v[4:5], s[60:61]                      // 000000004E00: D3B14004 18007904
	v_pk_mul_f32 v[6:7], v[6:7], s[60:61]                      // 000000004E08: D3B14006 18007906
	v_exp_f32_e32 v4, v4                                       // 000000004E10: 7E084104
	v_exp_f32_e32 v5, v5                                       // 000000004E14: 7E0A4105
	v_exp_f32_e32 v6, v6                                       // 000000004E18: 7E0C4106
	v_exp_f32_e32 v7, v7                                       // 000000004E1C: 7E0E4107
	v_add_f32_e64 v4, v4, 1.0                                  // 000000004E20: D1010004 0001E504
	v_add_f32_e64 v5, v5, 1.0                                  // 000000004E28: D1010005 0001E505
	v_add_f32_e64 v6, v6, 1.0                                  // 000000004E30: D1010006 0001E506
	v_add_f32_e64 v7, v7, 1.0                                  // 000000004E38: D1010007 0001E507
	v_rcp_f32_e32 v4, v4                                       // 000000004E40: 7E084504
	v_rcp_f32_e32 v5, v5                                       // 000000004E44: 7E0A4505
	v_rcp_f32_e32 v6, v6                                       // 000000004E48: 7E0C4506
	v_rcp_f32_e32 v7, v7                                       // 000000004E4C: 7E0E4507
	v_mul_f32_e32 v92, v92, v4                                 // 000000004E50: 0AB8095C
	v_mul_f32_e32 v93, v93, v5                                 // 000000004E54: 0ABA0B5D
	v_mul_f32_e32 v94, v94, v6                                 // 000000004E58: 0ABC0D5E
	v_mul_f32_e32 v95, v95, v7                                 // 000000004E5C: 0ABE0F5F
	v_mul_f32_e32 v92, v92, v156                               // 000000004E60: 0AB9395C
	v_mul_f32_e32 v93, v93, v157                               // 000000004E64: 0ABB3B5D
	v_mul_f32_e32 v94, v94, v158                               // 000000004E68: 0ABD3D5E
	v_mul_f32_e32 v95, v95, v159                               // 000000004E6C: 0ABF3F5F
	v_pk_mul_f32 v[4:5], v[96:97], v[96:97]                    // 000000004E70: D3B14004 1802C160
	v_pk_mul_f32 v[6:7], v[98:99], v[98:99]                    // 000000004E78: D3B14006 1802C562
	v_pk_fma_f32 v[4:5], v[4:5], s[78:79], v[8:9]              // 000000004E80: D3B04004 1C209D04
	v_pk_fma_f32 v[6:7], v[6:7], s[78:79], v[8:9]              // 000000004E88: D3B04006 1C209D06
	v_pk_mul_f32 v[4:5], v[4:5], v[96:97]                      // 000000004E90: D3B14004 1802C104
	v_pk_mul_f32 v[6:7], v[6:7], v[98:99]                      // 000000004E98: D3B14006 1802C506
	v_pk_mul_f32 v[4:5], v[4:5], s[60:61]                      // 000000004EA0: D3B14004 18007904
	v_pk_mul_f32 v[6:7], v[6:7], s[60:61]                      // 000000004EA8: D3B14006 18007906
	v_exp_f32_e32 v4, v4                                       // 000000004EB0: 7E084104
	v_exp_f32_e32 v5, v5                                       // 000000004EB4: 7E0A4105
	v_exp_f32_e32 v6, v6                                       // 000000004EB8: 7E0C4106
	v_exp_f32_e32 v7, v7                                       // 000000004EBC: 7E0E4107
	v_add_f32_e64 v4, v4, 1.0                                  // 000000004EC0: D1010004 0001E504
	v_add_f32_e64 v5, v5, 1.0                                  // 000000004EC8: D1010005 0001E505
	v_add_f32_e64 v6, v6, 1.0                                  // 000000004ED0: D1010006 0001E506
	v_add_f32_e64 v7, v7, 1.0                                  // 000000004ED8: D1010007 0001E507
	v_rcp_f32_e32 v4, v4                                       // 000000004EE0: 7E084504
	v_rcp_f32_e32 v5, v5                                       // 000000004EE4: 7E0A4505
	v_rcp_f32_e32 v6, v6                                       // 000000004EE8: 7E0C4506
	v_rcp_f32_e32 v7, v7                                       // 000000004EEC: 7E0E4507
	v_mul_f32_e32 v96, v96, v4                                 // 000000004EF0: 0AC00960
	v_mul_f32_e32 v97, v97, v5                                 // 000000004EF4: 0AC20B61
	v_mul_f32_e32 v98, v98, v6                                 // 000000004EF8: 0AC40D62
	v_mul_f32_e32 v99, v99, v7                                 // 000000004EFC: 0AC60F63
	v_mul_f32_e32 v96, v96, v160                               // 000000004F00: 0AC14160
	v_mul_f32_e32 v97, v97, v161                               // 000000004F04: 0AC34361
	v_mul_f32_e32 v98, v98, v162                               // 000000004F08: 0AC54562
	v_mul_f32_e32 v99, v99, v163                               // 000000004F0C: 0AC74763
	v_pk_mul_f32 v[4:5], v[100:101], v[100:101]                // 000000004F10: D3B14004 1802C964
	v_pk_mul_f32 v[6:7], v[102:103], v[102:103]                // 000000004F18: D3B14006 1802CD66
	v_pk_fma_f32 v[4:5], v[4:5], s[78:79], v[8:9]              // 000000004F20: D3B04004 1C209D04
	v_pk_fma_f32 v[6:7], v[6:7], s[78:79], v[8:9]              // 000000004F28: D3B04006 1C209D06
	v_pk_mul_f32 v[4:5], v[4:5], v[100:101]                    // 000000004F30: D3B14004 1802C904
	v_pk_mul_f32 v[6:7], v[6:7], v[102:103]                    // 000000004F38: D3B14006 1802CD06
	v_pk_mul_f32 v[4:5], v[4:5], s[60:61]                      // 000000004F40: D3B14004 18007904
	v_pk_mul_f32 v[6:7], v[6:7], s[60:61]                      // 000000004F48: D3B14006 18007906
	v_exp_f32_e32 v4, v4                                       // 000000004F50: 7E084104
	v_exp_f32_e32 v5, v5                                       // 000000004F54: 7E0A4105
	v_exp_f32_e32 v6, v6                                       // 000000004F58: 7E0C4106
	v_exp_f32_e32 v7, v7                                       // 000000004F5C: 7E0E4107
	v_add_f32_e64 v4, v4, 1.0                                  // 000000004F60: D1010004 0001E504
	v_add_f32_e64 v5, v5, 1.0                                  // 000000004F68: D1010005 0001E505
	v_add_f32_e64 v6, v6, 1.0                                  // 000000004F70: D1010006 0001E506
	v_add_f32_e64 v7, v7, 1.0                                  // 000000004F78: D1010007 0001E507
	v_rcp_f32_e32 v4, v4                                       // 000000004F80: 7E084504
	v_rcp_f32_e32 v5, v5                                       // 000000004F84: 7E0A4505
	v_rcp_f32_e32 v6, v6                                       // 000000004F88: 7E0C4506
	v_rcp_f32_e32 v7, v7                                       // 000000004F8C: 7E0E4507
	v_mul_f32_e32 v100, v100, v4                               // 000000004F90: 0AC80964
	v_mul_f32_e32 v101, v101, v5                               // 000000004F94: 0ACA0B65
	v_mul_f32_e32 v102, v102, v6                               // 000000004F98: 0ACC0D66
	v_mul_f32_e32 v103, v103, v7                               // 000000004F9C: 0ACE0F67
	v_mul_f32_e32 v100, v100, v164                             // 000000004FA0: 0AC94964
	v_mul_f32_e32 v101, v101, v165                             // 000000004FA4: 0ACB4B65
	v_mul_f32_e32 v102, v102, v166                             // 000000004FA8: 0ACD4D66
	v_mul_f32_e32 v103, v103, v167                             // 000000004FAC: 0ACF4F67
	v_pk_mul_f32 v[4:5], v[104:105], v[104:105]                // 000000004FB0: D3B14004 1802D168
	v_pk_mul_f32 v[6:7], v[106:107], v[106:107]                // 000000004FB8: D3B14006 1802D56A
	v_pk_fma_f32 v[4:5], v[4:5], s[78:79], v[8:9]              // 000000004FC0: D3B04004 1C209D04
	v_pk_fma_f32 v[6:7], v[6:7], s[78:79], v[8:9]              // 000000004FC8: D3B04006 1C209D06
	v_pk_mul_f32 v[4:5], v[4:5], v[104:105]                    // 000000004FD0: D3B14004 1802D104
	v_pk_mul_f32 v[6:7], v[6:7], v[106:107]                    // 000000004FD8: D3B14006 1802D506
	v_pk_mul_f32 v[4:5], v[4:5], s[60:61]                      // 000000004FE0: D3B14004 18007904
	v_pk_mul_f32 v[6:7], v[6:7], s[60:61]                      // 000000004FE8: D3B14006 18007906
	v_exp_f32_e32 v4, v4                                       // 000000004FF0: 7E084104
	v_exp_f32_e32 v5, v5                                       // 000000004FF4: 7E0A4105
	v_exp_f32_e32 v6, v6                                       // 000000004FF8: 7E0C4106
	v_exp_f32_e32 v7, v7                                       // 000000004FFC: 7E0E4107
	v_add_f32_e64 v4, v4, 1.0                                  // 000000005000: D1010004 0001E504
	v_add_f32_e64 v5, v5, 1.0                                  // 000000005008: D1010005 0001E505
	v_add_f32_e64 v6, v6, 1.0                                  // 000000005010: D1010006 0001E506
	v_add_f32_e64 v7, v7, 1.0                                  // 000000005018: D1010007 0001E507
	v_rcp_f32_e32 v4, v4                                       // 000000005020: 7E084504
	v_rcp_f32_e32 v5, v5                                       // 000000005024: 7E0A4505
	v_rcp_f32_e32 v6, v6                                       // 000000005028: 7E0C4506
	v_rcp_f32_e32 v7, v7                                       // 00000000502C: 7E0E4507
	v_mul_f32_e32 v104, v104, v4                               // 000000005030: 0AD00968
	v_mul_f32_e32 v105, v105, v5                               // 000000005034: 0AD20B69
	v_mul_f32_e32 v106, v106, v6                               // 000000005038: 0AD40D6A
	v_mul_f32_e32 v107, v107, v7                               // 00000000503C: 0AD60F6B
	v_mul_f32_e32 v104, v104, v168                             // 000000005040: 0AD15168
	v_mul_f32_e32 v105, v105, v169                             // 000000005044: 0AD35369
	v_mul_f32_e32 v106, v106, v170                             // 000000005048: 0AD5556A
	v_mul_f32_e32 v107, v107, v171                             // 00000000504C: 0AD7576B
	v_pk_mul_f32 v[4:5], v[108:109], v[108:109]                // 000000005050: D3B14004 1802D96C
	v_pk_mul_f32 v[6:7], v[110:111], v[110:111]                // 000000005058: D3B14006 1802DD6E
	v_pk_fma_f32 v[4:5], v[4:5], s[78:79], v[8:9]              // 000000005060: D3B04004 1C209D04
	v_pk_fma_f32 v[6:7], v[6:7], s[78:79], v[8:9]              // 000000005068: D3B04006 1C209D06
	v_pk_mul_f32 v[4:5], v[4:5], v[108:109]                    // 000000005070: D3B14004 1802D904
	v_pk_mul_f32 v[6:7], v[6:7], v[110:111]                    // 000000005078: D3B14006 1802DD06
	v_pk_mul_f32 v[4:5], v[4:5], s[60:61]                      // 000000005080: D3B14004 18007904
	v_pk_mul_f32 v[6:7], v[6:7], s[60:61]                      // 000000005088: D3B14006 18007906
	v_exp_f32_e32 v4, v4                                       // 000000005090: 7E084104
	v_exp_f32_e32 v5, v5                                       // 000000005094: 7E0A4105
	v_exp_f32_e32 v6, v6                                       // 000000005098: 7E0C4106
	v_exp_f32_e32 v7, v7                                       // 00000000509C: 7E0E4107
	v_add_f32_e64 v4, v4, 1.0                                  // 0000000050A0: D1010004 0001E504
	v_add_f32_e64 v5, v5, 1.0                                  // 0000000050A8: D1010005 0001E505
	v_add_f32_e64 v6, v6, 1.0                                  // 0000000050B0: D1010006 0001E506
	v_add_f32_e64 v7, v7, 1.0                                  // 0000000050B8: D1010007 0001E507
	v_rcp_f32_e32 v4, v4                                       // 0000000050C0: 7E084504
	v_rcp_f32_e32 v5, v5                                       // 0000000050C4: 7E0A4505
	v_rcp_f32_e32 v6, v6                                       // 0000000050C8: 7E0C4506
	v_rcp_f32_e32 v7, v7                                       // 0000000050CC: 7E0E4507
	v_mul_f32_e32 v108, v108, v4                               // 0000000050D0: 0AD8096C
	v_mul_f32_e32 v109, v109, v5                               // 0000000050D4: 0ADA0B6D
	v_mul_f32_e32 v110, v110, v6                               // 0000000050D8: 0ADC0D6E
	v_mul_f32_e32 v111, v111, v7                               // 0000000050DC: 0ADE0F6F
	v_mul_f32_e32 v108, v108, v172                             // 0000000050E0: 0AD9596C
	v_mul_f32_e32 v109, v109, v173                             // 0000000050E4: 0ADB5B6D
	v_mul_f32_e32 v110, v110, v174                             // 0000000050E8: 0ADD5D6E
	v_mul_f32_e32 v111, v111, v175                             // 0000000050EC: 0ADF5F6F
	v_pk_mul_f32 v[4:5], v[112:113], v[112:113]                // 0000000050F0: D3B14004 1802E170
	v_pk_mul_f32 v[6:7], v[114:115], v[114:115]                // 0000000050F8: D3B14006 1802E572
	v_pk_fma_f32 v[4:5], v[4:5], s[78:79], v[8:9]              // 000000005100: D3B04004 1C209D04
	v_pk_fma_f32 v[6:7], v[6:7], s[78:79], v[8:9]              // 000000005108: D3B04006 1C209D06
	v_pk_mul_f32 v[4:5], v[4:5], v[112:113]                    // 000000005110: D3B14004 1802E104
	v_pk_mul_f32 v[6:7], v[6:7], v[114:115]                    // 000000005118: D3B14006 1802E506
	v_pk_mul_f32 v[4:5], v[4:5], s[60:61]                      // 000000005120: D3B14004 18007904
	v_pk_mul_f32 v[6:7], v[6:7], s[60:61]                      // 000000005128: D3B14006 18007906
	v_exp_f32_e32 v4, v4                                       // 000000005130: 7E084104
	v_exp_f32_e32 v5, v5                                       // 000000005134: 7E0A4105
	v_exp_f32_e32 v6, v6                                       // 000000005138: 7E0C4106
	v_exp_f32_e32 v7, v7                                       // 00000000513C: 7E0E4107
	v_add_f32_e64 v4, v4, 1.0                                  // 000000005140: D1010004 0001E504
	v_add_f32_e64 v5, v5, 1.0                                  // 000000005148: D1010005 0001E505
	v_add_f32_e64 v6, v6, 1.0                                  // 000000005150: D1010006 0001E506
	v_add_f32_e64 v7, v7, 1.0                                  // 000000005158: D1010007 0001E507
	v_rcp_f32_e32 v4, v4                                       // 000000005160: 7E084504
	v_rcp_f32_e32 v5, v5                                       // 000000005164: 7E0A4505
	v_rcp_f32_e32 v6, v6                                       // 000000005168: 7E0C4506
	v_rcp_f32_e32 v7, v7                                       // 00000000516C: 7E0E4507
	v_mul_f32_e32 v112, v112, v4                               // 000000005170: 0AE00970
	v_mul_f32_e32 v113, v113, v5                               // 000000005174: 0AE20B71
	v_mul_f32_e32 v114, v114, v6                               // 000000005178: 0AE40D72
	v_mul_f32_e32 v115, v115, v7                               // 00000000517C: 0AE60F73
	v_mul_f32_e32 v112, v112, v176                             // 000000005180: 0AE16170
	v_mul_f32_e32 v113, v113, v177                             // 000000005184: 0AE36371
	v_mul_f32_e32 v114, v114, v178                             // 000000005188: 0AE56572
	v_mul_f32_e32 v115, v115, v179                             // 00000000518C: 0AE76773
	v_pk_mul_f32 v[4:5], v[116:117], v[116:117]                // 000000005190: D3B14004 1802E974
	v_pk_mul_f32 v[6:7], v[118:119], v[118:119]                // 000000005198: D3B14006 1802ED76
	v_pk_fma_f32 v[4:5], v[4:5], s[78:79], v[8:9]              // 0000000051A0: D3B04004 1C209D04
	v_pk_fma_f32 v[6:7], v[6:7], s[78:79], v[8:9]              // 0000000051A8: D3B04006 1C209D06
	v_pk_mul_f32 v[4:5], v[4:5], v[116:117]                    // 0000000051B0: D3B14004 1802E904
	v_pk_mul_f32 v[6:7], v[6:7], v[118:119]                    // 0000000051B8: D3B14006 1802ED06
	v_pk_mul_f32 v[4:5], v[4:5], s[60:61]                      // 0000000051C0: D3B14004 18007904
	v_pk_mul_f32 v[6:7], v[6:7], s[60:61]                      // 0000000051C8: D3B14006 18007906
	v_exp_f32_e32 v4, v4                                       // 0000000051D0: 7E084104
	v_exp_f32_e32 v5, v5                                       // 0000000051D4: 7E0A4105
	v_exp_f32_e32 v6, v6                                       // 0000000051D8: 7E0C4106
	v_exp_f32_e32 v7, v7                                       // 0000000051DC: 7E0E4107
	v_add_f32_e64 v4, v4, 1.0                                  // 0000000051E0: D1010004 0001E504
	v_add_f32_e64 v5, v5, 1.0                                  // 0000000051E8: D1010005 0001E505
	v_add_f32_e64 v6, v6, 1.0                                  // 0000000051F0: D1010006 0001E506
	v_add_f32_e64 v7, v7, 1.0                                  // 0000000051F8: D1010007 0001E507
	v_rcp_f32_e32 v4, v4                                       // 000000005200: 7E084504
	v_rcp_f32_e32 v5, v5                                       // 000000005204: 7E0A4505
	v_rcp_f32_e32 v6, v6                                       // 000000005208: 7E0C4506
	v_rcp_f32_e32 v7, v7                                       // 00000000520C: 7E0E4507
	v_mul_f32_e32 v116, v116, v4                               // 000000005210: 0AE80974
	v_mul_f32_e32 v117, v117, v5                               // 000000005214: 0AEA0B75
	v_mul_f32_e32 v118, v118, v6                               // 000000005218: 0AEC0D76
	v_mul_f32_e32 v119, v119, v7                               // 00000000521C: 0AEE0F77
	v_mul_f32_e32 v116, v116, v180                             // 000000005220: 0AE96974
	v_mul_f32_e32 v117, v117, v181                             // 000000005224: 0AEB6B75
	v_mul_f32_e32 v118, v118, v182                             // 000000005228: 0AED6D76
	v_mul_f32_e32 v119, v119, v183                             // 00000000522C: 0AEF6F77
	s_branch label_0C0D                                        // 000000005230: BF820200

0000000000005234 <label_0A0D>:
	v_mul_f32_e64 v4, -v56, s6                                 // 000000005234: D1050004 20000D38
	v_mul_f32_e64 v5, -v57, s6                                 // 00000000523C: D1050005 20000D39
	v_mul_f32_e64 v6, -v58, s6                                 // 000000005244: D1050006 20000D3A
	v_mul_f32_e64 v7, -v59, s6                                 // 00000000524C: D1050007 20000D3B
	v_exp_f32_e32 v4, v4                                       // 000000005254: 7E084104
	v_exp_f32_e32 v5, v5                                       // 000000005258: 7E0A4105
	v_exp_f32_e32 v6, v6                                       // 00000000525C: 7E0C4106
	v_exp_f32_e32 v7, v7                                       // 000000005260: 7E0E4107
	v_add_f32_e64 v4, v4, 1.0                                  // 000000005264: D1010004 0001E504
	v_add_f32_e64 v5, v5, 1.0                                  // 00000000526C: D1010005 0001E505
	v_add_f32_e64 v6, v6, 1.0                                  // 000000005274: D1010006 0001E506
	v_add_f32_e64 v7, v7, 1.0                                  // 00000000527C: D1010007 0001E507
	v_rcp_f32_e32 v4, v4                                       // 000000005284: 7E084504
	v_rcp_f32_e32 v5, v5                                       // 000000005288: 7E0A4505
	v_rcp_f32_e32 v6, v6                                       // 00000000528C: 7E0C4506
	v_rcp_f32_e32 v7, v7                                       // 000000005290: 7E0E4507
	v_mul_f32_e32 v56, v56, v4                                 // 000000005294: 0A700938
	v_mul_f32_e32 v57, v57, v5                                 // 000000005298: 0A720B39
	v_mul_f32_e32 v58, v58, v6                                 // 00000000529C: 0A740D3A
	v_mul_f32_e32 v59, v59, v7                                 // 0000000052A0: 0A760F3B
	v_mul_f32_e32 v56, v56, v120                               // 0000000052A4: 0A70F138
	v_mul_f32_e32 v57, v57, v121                               // 0000000052A8: 0A72F339
	v_mul_f32_e32 v58, v58, v122                               // 0000000052AC: 0A74F53A
	v_mul_f32_e32 v59, v59, v123                               // 0000000052B0: 0A76F73B
	v_mul_f32_e64 v4, -v60, s6                                 // 0000000052B4: D1050004 20000D3C
	v_mul_f32_e64 v5, -v61, s6                                 // 0000000052BC: D1050005 20000D3D
	v_mul_f32_e64 v6, -v62, s6                                 // 0000000052C4: D1050006 20000D3E
	v_mul_f32_e64 v7, -v63, s6                                 // 0000000052CC: D1050007 20000D3F
	v_exp_f32_e32 v4, v4                                       // 0000000052D4: 7E084104
	v_exp_f32_e32 v5, v5                                       // 0000000052D8: 7E0A4105
	v_exp_f32_e32 v6, v6                                       // 0000000052DC: 7E0C4106
	v_exp_f32_e32 v7, v7                                       // 0000000052E0: 7E0E4107
	v_add_f32_e64 v4, v4, 1.0                                  // 0000000052E4: D1010004 0001E504
	v_add_f32_e64 v5, v5, 1.0                                  // 0000000052EC: D1010005 0001E505
	v_add_f32_e64 v6, v6, 1.0                                  // 0000000052F4: D1010006 0001E506
	v_add_f32_e64 v7, v7, 1.0                                  // 0000000052FC: D1010007 0001E507
	v_rcp_f32_e32 v4, v4                                       // 000000005304: 7E084504
	v_rcp_f32_e32 v5, v5                                       // 000000005308: 7E0A4505
	v_rcp_f32_e32 v6, v6                                       // 00000000530C: 7E0C4506
	v_rcp_f32_e32 v7, v7                                       // 000000005310: 7E0E4507
	v_mul_f32_e32 v60, v60, v4                                 // 000000005314: 0A78093C
	v_mul_f32_e32 v61, v61, v5                                 // 000000005318: 0A7A0B3D
	v_mul_f32_e32 v62, v62, v6                                 // 00000000531C: 0A7C0D3E
	v_mul_f32_e32 v63, v63, v7                                 // 000000005320: 0A7E0F3F
	v_mul_f32_e32 v60, v60, v124                               // 000000005324: 0A78F93C
	v_mul_f32_e32 v61, v61, v125                               // 000000005328: 0A7AFB3D
	v_mul_f32_e32 v62, v62, v126                               // 00000000532C: 0A7CFD3E
	v_mul_f32_e32 v63, v63, v127                               // 000000005330: 0A7EFF3F
	v_mul_f32_e64 v4, -v64, s6                                 // 000000005334: D1050004 20000D40
	v_mul_f32_e64 v5, -v65, s6                                 // 00000000533C: D1050005 20000D41
	v_mul_f32_e64 v6, -v66, s6                                 // 000000005344: D1050006 20000D42
	v_mul_f32_e64 v7, -v67, s6                                 // 00000000534C: D1050007 20000D43
	v_exp_f32_e32 v4, v4                                       // 000000005354: 7E084104
	v_exp_f32_e32 v5, v5                                       // 000000005358: 7E0A4105
	v_exp_f32_e32 v6, v6                                       // 00000000535C: 7E0C4106
	v_exp_f32_e32 v7, v7                                       // 000000005360: 7E0E4107
	v_add_f32_e64 v4, v4, 1.0                                  // 000000005364: D1010004 0001E504
	v_add_f32_e64 v5, v5, 1.0                                  // 00000000536C: D1010005 0001E505
	v_add_f32_e64 v6, v6, 1.0                                  // 000000005374: D1010006 0001E506
	v_add_f32_e64 v7, v7, 1.0                                  // 00000000537C: D1010007 0001E507
	v_rcp_f32_e32 v4, v4                                       // 000000005384: 7E084504
	v_rcp_f32_e32 v5, v5                                       // 000000005388: 7E0A4505
	v_rcp_f32_e32 v6, v6                                       // 00000000538C: 7E0C4506
	v_rcp_f32_e32 v7, v7                                       // 000000005390: 7E0E4507
	v_mul_f32_e32 v64, v64, v4                                 // 000000005394: 0A800940
	v_mul_f32_e32 v65, v65, v5                                 // 000000005398: 0A820B41
	v_mul_f32_e32 v66, v66, v6                                 // 00000000539C: 0A840D42
	v_mul_f32_e32 v67, v67, v7                                 // 0000000053A0: 0A860F43
	v_mul_f32_e32 v64, v64, v128                               // 0000000053A4: 0A810140
	v_mul_f32_e32 v65, v65, v129                               // 0000000053A8: 0A830341
	v_mul_f32_e32 v66, v66, v130                               // 0000000053AC: 0A850542
	v_mul_f32_e32 v67, v67, v131                               // 0000000053B0: 0A870743
	v_mul_f32_e64 v4, -v68, s6                                 // 0000000053B4: D1050004 20000D44
	v_mul_f32_e64 v5, -v69, s6                                 // 0000000053BC: D1050005 20000D45
	v_mul_f32_e64 v6, -v70, s6                                 // 0000000053C4: D1050006 20000D46
	v_mul_f32_e64 v7, -v71, s6                                 // 0000000053CC: D1050007 20000D47
	v_exp_f32_e32 v4, v4                                       // 0000000053D4: 7E084104
	v_exp_f32_e32 v5, v5                                       // 0000000053D8: 7E0A4105
	v_exp_f32_e32 v6, v6                                       // 0000000053DC: 7E0C4106
	v_exp_f32_e32 v7, v7                                       // 0000000053E0: 7E0E4107
	v_add_f32_e64 v4, v4, 1.0                                  // 0000000053E4: D1010004 0001E504
	v_add_f32_e64 v5, v5, 1.0                                  // 0000000053EC: D1010005 0001E505
	v_add_f32_e64 v6, v6, 1.0                                  // 0000000053F4: D1010006 0001E506
	v_add_f32_e64 v7, v7, 1.0                                  // 0000000053FC: D1010007 0001E507
	v_rcp_f32_e32 v4, v4                                       // 000000005404: 7E084504
	v_rcp_f32_e32 v5, v5                                       // 000000005408: 7E0A4505
	v_rcp_f32_e32 v6, v6                                       // 00000000540C: 7E0C4506
	v_rcp_f32_e32 v7, v7                                       // 000000005410: 7E0E4507
	v_mul_f32_e32 v68, v68, v4                                 // 000000005414: 0A880944
	v_mul_f32_e32 v69, v69, v5                                 // 000000005418: 0A8A0B45
	v_mul_f32_e32 v70, v70, v6                                 // 00000000541C: 0A8C0D46
	v_mul_f32_e32 v71, v71, v7                                 // 000000005420: 0A8E0F47
	v_mul_f32_e32 v68, v68, v132                               // 000000005424: 0A890944
	v_mul_f32_e32 v69, v69, v133                               // 000000005428: 0A8B0B45
	v_mul_f32_e32 v70, v70, v134                               // 00000000542C: 0A8D0D46
	v_mul_f32_e32 v71, v71, v135                               // 000000005430: 0A8F0F47
	v_mul_f32_e64 v4, -v72, s6                                 // 000000005434: D1050004 20000D48
	v_mul_f32_e64 v5, -v73, s6                                 // 00000000543C: D1050005 20000D49
	v_mul_f32_e64 v6, -v74, s6                                 // 000000005444: D1050006 20000D4A
	v_mul_f32_e64 v7, -v75, s6                                 // 00000000544C: D1050007 20000D4B
	v_exp_f32_e32 v4, v4                                       // 000000005454: 7E084104
	v_exp_f32_e32 v5, v5                                       // 000000005458: 7E0A4105
	v_exp_f32_e32 v6, v6                                       // 00000000545C: 7E0C4106
	v_exp_f32_e32 v7, v7                                       // 000000005460: 7E0E4107
	v_add_f32_e64 v4, v4, 1.0                                  // 000000005464: D1010004 0001E504
	v_add_f32_e64 v5, v5, 1.0                                  // 00000000546C: D1010005 0001E505
	v_add_f32_e64 v6, v6, 1.0                                  // 000000005474: D1010006 0001E506
	v_add_f32_e64 v7, v7, 1.0                                  // 00000000547C: D1010007 0001E507
	v_rcp_f32_e32 v4, v4                                       // 000000005484: 7E084504
	v_rcp_f32_e32 v5, v5                                       // 000000005488: 7E0A4505
	v_rcp_f32_e32 v6, v6                                       // 00000000548C: 7E0C4506
	v_rcp_f32_e32 v7, v7                                       // 000000005490: 7E0E4507
	v_mul_f32_e32 v72, v72, v4                                 // 000000005494: 0A900948
	v_mul_f32_e32 v73, v73, v5                                 // 000000005498: 0A920B49
	v_mul_f32_e32 v74, v74, v6                                 // 00000000549C: 0A940D4A
	v_mul_f32_e32 v75, v75, v7                                 // 0000000054A0: 0A960F4B
	v_mul_f32_e32 v72, v72, v136                               // 0000000054A4: 0A911148
	v_mul_f32_e32 v73, v73, v137                               // 0000000054A8: 0A931349
	v_mul_f32_e32 v74, v74, v138                               // 0000000054AC: 0A95154A
	v_mul_f32_e32 v75, v75, v139                               // 0000000054B0: 0A97174B
	v_mul_f32_e64 v4, -v76, s6                                 // 0000000054B4: D1050004 20000D4C
	v_mul_f32_e64 v5, -v77, s6                                 // 0000000054BC: D1050005 20000D4D
	v_mul_f32_e64 v6, -v78, s6                                 // 0000000054C4: D1050006 20000D4E
	v_mul_f32_e64 v7, -v79, s6                                 // 0000000054CC: D1050007 20000D4F
	v_exp_f32_e32 v4, v4                                       // 0000000054D4: 7E084104
	v_exp_f32_e32 v5, v5                                       // 0000000054D8: 7E0A4105
	v_exp_f32_e32 v6, v6                                       // 0000000054DC: 7E0C4106
	v_exp_f32_e32 v7, v7                                       // 0000000054E0: 7E0E4107
	v_add_f32_e64 v4, v4, 1.0                                  // 0000000054E4: D1010004 0001E504
	v_add_f32_e64 v5, v5, 1.0                                  // 0000000054EC: D1010005 0001E505
	v_add_f32_e64 v6, v6, 1.0                                  // 0000000054F4: D1010006 0001E506
	v_add_f32_e64 v7, v7, 1.0                                  // 0000000054FC: D1010007 0001E507
	v_rcp_f32_e32 v4, v4                                       // 000000005504: 7E084504
	v_rcp_f32_e32 v5, v5                                       // 000000005508: 7E0A4505
	v_rcp_f32_e32 v6, v6                                       // 00000000550C: 7E0C4506
	v_rcp_f32_e32 v7, v7                                       // 000000005510: 7E0E4507
	v_mul_f32_e32 v76, v76, v4                                 // 000000005514: 0A98094C
	v_mul_f32_e32 v77, v77, v5                                 // 000000005518: 0A9A0B4D
	v_mul_f32_e32 v78, v78, v6                                 // 00000000551C: 0A9C0D4E
	v_mul_f32_e32 v79, v79, v7                                 // 000000005520: 0A9E0F4F
	v_mul_f32_e32 v76, v76, v140                               // 000000005524: 0A99194C
	v_mul_f32_e32 v77, v77, v141                               // 000000005528: 0A9B1B4D
	v_mul_f32_e32 v78, v78, v142                               // 00000000552C: 0A9D1D4E
	v_mul_f32_e32 v79, v79, v143                               // 000000005530: 0A9F1F4F
	v_mul_f32_e64 v4, -v80, s6                                 // 000000005534: D1050004 20000D50
	v_mul_f32_e64 v5, -v81, s6                                 // 00000000553C: D1050005 20000D51
	v_mul_f32_e64 v6, -v82, s6                                 // 000000005544: D1050006 20000D52
	v_mul_f32_e64 v7, -v83, s6                                 // 00000000554C: D1050007 20000D53
	v_exp_f32_e32 v4, v4                                       // 000000005554: 7E084104
	v_exp_f32_e32 v5, v5                                       // 000000005558: 7E0A4105
	v_exp_f32_e32 v6, v6                                       // 00000000555C: 7E0C4106
	v_exp_f32_e32 v7, v7                                       // 000000005560: 7E0E4107
	v_add_f32_e64 v4, v4, 1.0                                  // 000000005564: D1010004 0001E504
	v_add_f32_e64 v5, v5, 1.0                                  // 00000000556C: D1010005 0001E505
	v_add_f32_e64 v6, v6, 1.0                                  // 000000005574: D1010006 0001E506
	v_add_f32_e64 v7, v7, 1.0                                  // 00000000557C: D1010007 0001E507
	v_rcp_f32_e32 v4, v4                                       // 000000005584: 7E084504
	v_rcp_f32_e32 v5, v5                                       // 000000005588: 7E0A4505
	v_rcp_f32_e32 v6, v6                                       // 00000000558C: 7E0C4506
	v_rcp_f32_e32 v7, v7                                       // 000000005590: 7E0E4507
	v_mul_f32_e32 v80, v80, v4                                 // 000000005594: 0AA00950
	v_mul_f32_e32 v81, v81, v5                                 // 000000005598: 0AA20B51
	v_mul_f32_e32 v82, v82, v6                                 // 00000000559C: 0AA40D52
	v_mul_f32_e32 v83, v83, v7                                 // 0000000055A0: 0AA60F53
	v_mul_f32_e32 v80, v80, v144                               // 0000000055A4: 0AA12150
	v_mul_f32_e32 v81, v81, v145                               // 0000000055A8: 0AA32351
	v_mul_f32_e32 v82, v82, v146                               // 0000000055AC: 0AA52552
	v_mul_f32_e32 v83, v83, v147                               // 0000000055B0: 0AA72753
	v_mul_f32_e64 v4, -v84, s6                                 // 0000000055B4: D1050004 20000D54
	v_mul_f32_e64 v5, -v85, s6                                 // 0000000055BC: D1050005 20000D55
	v_mul_f32_e64 v6, -v86, s6                                 // 0000000055C4: D1050006 20000D56
	v_mul_f32_e64 v7, -v87, s6                                 // 0000000055CC: D1050007 20000D57
	v_exp_f32_e32 v4, v4                                       // 0000000055D4: 7E084104
	v_exp_f32_e32 v5, v5                                       // 0000000055D8: 7E0A4105
	v_exp_f32_e32 v6, v6                                       // 0000000055DC: 7E0C4106
	v_exp_f32_e32 v7, v7                                       // 0000000055E0: 7E0E4107
	v_add_f32_e64 v4, v4, 1.0                                  // 0000000055E4: D1010004 0001E504
	v_add_f32_e64 v5, v5, 1.0                                  // 0000000055EC: D1010005 0001E505
	v_add_f32_e64 v6, v6, 1.0                                  // 0000000055F4: D1010006 0001E506
	v_add_f32_e64 v7, v7, 1.0                                  // 0000000055FC: D1010007 0001E507
	v_rcp_f32_e32 v4, v4                                       // 000000005604: 7E084504
	v_rcp_f32_e32 v5, v5                                       // 000000005608: 7E0A4505
	v_rcp_f32_e32 v6, v6                                       // 00000000560C: 7E0C4506
	v_rcp_f32_e32 v7, v7                                       // 000000005610: 7E0E4507
	v_mul_f32_e32 v84, v84, v4                                 // 000000005614: 0AA80954
	v_mul_f32_e32 v85, v85, v5                                 // 000000005618: 0AAA0B55
	v_mul_f32_e32 v86, v86, v6                                 // 00000000561C: 0AAC0D56
	v_mul_f32_e32 v87, v87, v7                                 // 000000005620: 0AAE0F57
	v_mul_f32_e32 v84, v84, v148                               // 000000005624: 0AA92954
	v_mul_f32_e32 v85, v85, v149                               // 000000005628: 0AAB2B55
	v_mul_f32_e32 v86, v86, v150                               // 00000000562C: 0AAD2D56
	v_mul_f32_e32 v87, v87, v151                               // 000000005630: 0AAF2F57
	v_mul_f32_e64 v4, -v88, s6                                 // 000000005634: D1050004 20000D58
	v_mul_f32_e64 v5, -v89, s6                                 // 00000000563C: D1050005 20000D59
	v_mul_f32_e64 v6, -v90, s6                                 // 000000005644: D1050006 20000D5A
	v_mul_f32_e64 v7, -v91, s6                                 // 00000000564C: D1050007 20000D5B
	v_exp_f32_e32 v4, v4                                       // 000000005654: 7E084104
	v_exp_f32_e32 v5, v5                                       // 000000005658: 7E0A4105
	v_exp_f32_e32 v6, v6                                       // 00000000565C: 7E0C4106
	v_exp_f32_e32 v7, v7                                       // 000000005660: 7E0E4107
	v_add_f32_e64 v4, v4, 1.0                                  // 000000005664: D1010004 0001E504
	v_add_f32_e64 v5, v5, 1.0                                  // 00000000566C: D1010005 0001E505
	v_add_f32_e64 v6, v6, 1.0                                  // 000000005674: D1010006 0001E506
	v_add_f32_e64 v7, v7, 1.0                                  // 00000000567C: D1010007 0001E507
	v_rcp_f32_e32 v4, v4                                       // 000000005684: 7E084504
	v_rcp_f32_e32 v5, v5                                       // 000000005688: 7E0A4505
	v_rcp_f32_e32 v6, v6                                       // 00000000568C: 7E0C4506
	v_rcp_f32_e32 v7, v7                                       // 000000005690: 7E0E4507
	v_mul_f32_e32 v88, v88, v4                                 // 000000005694: 0AB00958
	v_mul_f32_e32 v89, v89, v5                                 // 000000005698: 0AB20B59
	v_mul_f32_e32 v90, v90, v6                                 // 00000000569C: 0AB40D5A
	v_mul_f32_e32 v91, v91, v7                                 // 0000000056A0: 0AB60F5B
	v_mul_f32_e32 v88, v88, v152                               // 0000000056A4: 0AB13158
	v_mul_f32_e32 v89, v89, v153                               // 0000000056A8: 0AB33359
	v_mul_f32_e32 v90, v90, v154                               // 0000000056AC: 0AB5355A
	v_mul_f32_e32 v91, v91, v155                               // 0000000056B0: 0AB7375B
	v_mul_f32_e64 v4, -v92, s6                                 // 0000000056B4: D1050004 20000D5C
	v_mul_f32_e64 v5, -v93, s6                                 // 0000000056BC: D1050005 20000D5D
	v_mul_f32_e64 v6, -v94, s6                                 // 0000000056C4: D1050006 20000D5E
	v_mul_f32_e64 v7, -v95, s6                                 // 0000000056CC: D1050007 20000D5F
	v_exp_f32_e32 v4, v4                                       // 0000000056D4: 7E084104
	v_exp_f32_e32 v5, v5                                       // 0000000056D8: 7E0A4105
	v_exp_f32_e32 v6, v6                                       // 0000000056DC: 7E0C4106
	v_exp_f32_e32 v7, v7                                       // 0000000056E0: 7E0E4107
	v_add_f32_e64 v4, v4, 1.0                                  // 0000000056E4: D1010004 0001E504
	v_add_f32_e64 v5, v5, 1.0                                  // 0000000056EC: D1010005 0001E505
	v_add_f32_e64 v6, v6, 1.0                                  // 0000000056F4: D1010006 0001E506
	v_add_f32_e64 v7, v7, 1.0                                  // 0000000056FC: D1010007 0001E507
	v_rcp_f32_e32 v4, v4                                       // 000000005704: 7E084504
	v_rcp_f32_e32 v5, v5                                       // 000000005708: 7E0A4505
	v_rcp_f32_e32 v6, v6                                       // 00000000570C: 7E0C4506
	v_rcp_f32_e32 v7, v7                                       // 000000005710: 7E0E4507
	v_mul_f32_e32 v92, v92, v4                                 // 000000005714: 0AB8095C
	v_mul_f32_e32 v93, v93, v5                                 // 000000005718: 0ABA0B5D
	v_mul_f32_e32 v94, v94, v6                                 // 00000000571C: 0ABC0D5E
	v_mul_f32_e32 v95, v95, v7                                 // 000000005720: 0ABE0F5F
	v_mul_f32_e32 v92, v92, v156                               // 000000005724: 0AB9395C
	v_mul_f32_e32 v93, v93, v157                               // 000000005728: 0ABB3B5D
	v_mul_f32_e32 v94, v94, v158                               // 00000000572C: 0ABD3D5E
	v_mul_f32_e32 v95, v95, v159                               // 000000005730: 0ABF3F5F
	v_mul_f32_e64 v4, -v96, s6                                 // 000000005734: D1050004 20000D60
	v_mul_f32_e64 v5, -v97, s6                                 // 00000000573C: D1050005 20000D61
	v_mul_f32_e64 v6, -v98, s6                                 // 000000005744: D1050006 20000D62
	v_mul_f32_e64 v7, -v99, s6                                 // 00000000574C: D1050007 20000D63
	v_exp_f32_e32 v4, v4                                       // 000000005754: 7E084104
	v_exp_f32_e32 v5, v5                                       // 000000005758: 7E0A4105
	v_exp_f32_e32 v6, v6                                       // 00000000575C: 7E0C4106
	v_exp_f32_e32 v7, v7                                       // 000000005760: 7E0E4107
	v_add_f32_e64 v4, v4, 1.0                                  // 000000005764: D1010004 0001E504
	v_add_f32_e64 v5, v5, 1.0                                  // 00000000576C: D1010005 0001E505
	v_add_f32_e64 v6, v6, 1.0                                  // 000000005774: D1010006 0001E506
	v_add_f32_e64 v7, v7, 1.0                                  // 00000000577C: D1010007 0001E507
	v_rcp_f32_e32 v4, v4                                       // 000000005784: 7E084504
	v_rcp_f32_e32 v5, v5                                       // 000000005788: 7E0A4505
	v_rcp_f32_e32 v6, v6                                       // 00000000578C: 7E0C4506
	v_rcp_f32_e32 v7, v7                                       // 000000005790: 7E0E4507
	v_mul_f32_e32 v96, v96, v4                                 // 000000005794: 0AC00960
	v_mul_f32_e32 v97, v97, v5                                 // 000000005798: 0AC20B61
	v_mul_f32_e32 v98, v98, v6                                 // 00000000579C: 0AC40D62
	v_mul_f32_e32 v99, v99, v7                                 // 0000000057A0: 0AC60F63
	v_mul_f32_e32 v96, v96, v160                               // 0000000057A4: 0AC14160
	v_mul_f32_e32 v97, v97, v161                               // 0000000057A8: 0AC34361
	v_mul_f32_e32 v98, v98, v162                               // 0000000057AC: 0AC54562
	v_mul_f32_e32 v99, v99, v163                               // 0000000057B0: 0AC74763
	v_mul_f32_e64 v4, -v100, s6                                // 0000000057B4: D1050004 20000D64
	v_mul_f32_e64 v5, -v101, s6                                // 0000000057BC: D1050005 20000D65
	v_mul_f32_e64 v6, -v102, s6                                // 0000000057C4: D1050006 20000D66
	v_mul_f32_e64 v7, -v103, s6                                // 0000000057CC: D1050007 20000D67
	v_exp_f32_e32 v4, v4                                       // 0000000057D4: 7E084104
	v_exp_f32_e32 v5, v5                                       // 0000000057D8: 7E0A4105
	v_exp_f32_e32 v6, v6                                       // 0000000057DC: 7E0C4106
	v_exp_f32_e32 v7, v7                                       // 0000000057E0: 7E0E4107
	v_add_f32_e64 v4, v4, 1.0                                  // 0000000057E4: D1010004 0001E504
	v_add_f32_e64 v5, v5, 1.0                                  // 0000000057EC: D1010005 0001E505
	v_add_f32_e64 v6, v6, 1.0                                  // 0000000057F4: D1010006 0001E506
	v_add_f32_e64 v7, v7, 1.0                                  // 0000000057FC: D1010007 0001E507
	v_rcp_f32_e32 v4, v4                                       // 000000005804: 7E084504
	v_rcp_f32_e32 v5, v5                                       // 000000005808: 7E0A4505
	v_rcp_f32_e32 v6, v6                                       // 00000000580C: 7E0C4506
	v_rcp_f32_e32 v7, v7                                       // 000000005810: 7E0E4507
	v_mul_f32_e32 v100, v100, v4                               // 000000005814: 0AC80964
	v_mul_f32_e32 v101, v101, v5                               // 000000005818: 0ACA0B65
	v_mul_f32_e32 v102, v102, v6                               // 00000000581C: 0ACC0D66
	v_mul_f32_e32 v103, v103, v7                               // 000000005820: 0ACE0F67
	v_mul_f32_e32 v100, v100, v164                             // 000000005824: 0AC94964
	v_mul_f32_e32 v101, v101, v165                             // 000000005828: 0ACB4B65
	v_mul_f32_e32 v102, v102, v166                             // 00000000582C: 0ACD4D66
	v_mul_f32_e32 v103, v103, v167                             // 000000005830: 0ACF4F67
	v_mul_f32_e64 v4, -v104, s6                                // 000000005834: D1050004 20000D68
	v_mul_f32_e64 v5, -v105, s6                                // 00000000583C: D1050005 20000D69
	v_mul_f32_e64 v6, -v106, s6                                // 000000005844: D1050006 20000D6A
	v_mul_f32_e64 v7, -v107, s6                                // 00000000584C: D1050007 20000D6B
	v_exp_f32_e32 v4, v4                                       // 000000005854: 7E084104
	v_exp_f32_e32 v5, v5                                       // 000000005858: 7E0A4105
	v_exp_f32_e32 v6, v6                                       // 00000000585C: 7E0C4106
	v_exp_f32_e32 v7, v7                                       // 000000005860: 7E0E4107
	v_add_f32_e64 v4, v4, 1.0                                  // 000000005864: D1010004 0001E504
	v_add_f32_e64 v5, v5, 1.0                                  // 00000000586C: D1010005 0001E505
	v_add_f32_e64 v6, v6, 1.0                                  // 000000005874: D1010006 0001E506
	v_add_f32_e64 v7, v7, 1.0                                  // 00000000587C: D1010007 0001E507
	v_rcp_f32_e32 v4, v4                                       // 000000005884: 7E084504
	v_rcp_f32_e32 v5, v5                                       // 000000005888: 7E0A4505
	v_rcp_f32_e32 v6, v6                                       // 00000000588C: 7E0C4506
	v_rcp_f32_e32 v7, v7                                       // 000000005890: 7E0E4507
	v_mul_f32_e32 v104, v104, v4                               // 000000005894: 0AD00968
	v_mul_f32_e32 v105, v105, v5                               // 000000005898: 0AD20B69
	v_mul_f32_e32 v106, v106, v6                               // 00000000589C: 0AD40D6A
	v_mul_f32_e32 v107, v107, v7                               // 0000000058A0: 0AD60F6B
	v_mul_f32_e32 v104, v104, v168                             // 0000000058A4: 0AD15168
	v_mul_f32_e32 v105, v105, v169                             // 0000000058A8: 0AD35369
	v_mul_f32_e32 v106, v106, v170                             // 0000000058AC: 0AD5556A
	v_mul_f32_e32 v107, v107, v171                             // 0000000058B0: 0AD7576B
	v_mul_f32_e64 v4, -v108, s6                                // 0000000058B4: D1050004 20000D6C
	v_mul_f32_e64 v5, -v109, s6                                // 0000000058BC: D1050005 20000D6D
	v_mul_f32_e64 v6, -v110, s6                                // 0000000058C4: D1050006 20000D6E
	v_mul_f32_e64 v7, -v111, s6                                // 0000000058CC: D1050007 20000D6F
	v_exp_f32_e32 v4, v4                                       // 0000000058D4: 7E084104
	v_exp_f32_e32 v5, v5                                       // 0000000058D8: 7E0A4105
	v_exp_f32_e32 v6, v6                                       // 0000000058DC: 7E0C4106
	v_exp_f32_e32 v7, v7                                       // 0000000058E0: 7E0E4107
	v_add_f32_e64 v4, v4, 1.0                                  // 0000000058E4: D1010004 0001E504
	v_add_f32_e64 v5, v5, 1.0                                  // 0000000058EC: D1010005 0001E505
	v_add_f32_e64 v6, v6, 1.0                                  // 0000000058F4: D1010006 0001E506
	v_add_f32_e64 v7, v7, 1.0                                  // 0000000058FC: D1010007 0001E507
	v_rcp_f32_e32 v4, v4                                       // 000000005904: 7E084504
	v_rcp_f32_e32 v5, v5                                       // 000000005908: 7E0A4505
	v_rcp_f32_e32 v6, v6                                       // 00000000590C: 7E0C4506
	v_rcp_f32_e32 v7, v7                                       // 000000005910: 7E0E4507
	v_mul_f32_e32 v108, v108, v4                               // 000000005914: 0AD8096C
	v_mul_f32_e32 v109, v109, v5                               // 000000005918: 0ADA0B6D
	v_mul_f32_e32 v110, v110, v6                               // 00000000591C: 0ADC0D6E
	v_mul_f32_e32 v111, v111, v7                               // 000000005920: 0ADE0F6F
	v_mul_f32_e32 v108, v108, v172                             // 000000005924: 0AD9596C
	v_mul_f32_e32 v109, v109, v173                             // 000000005928: 0ADB5B6D
	v_mul_f32_e32 v110, v110, v174                             // 00000000592C: 0ADD5D6E
	v_mul_f32_e32 v111, v111, v175                             // 000000005930: 0ADF5F6F
	v_mul_f32_e64 v4, -v112, s6                                // 000000005934: D1050004 20000D70
	v_mul_f32_e64 v5, -v113, s6                                // 00000000593C: D1050005 20000D71
	v_mul_f32_e64 v6, -v114, s6                                // 000000005944: D1050006 20000D72
	v_mul_f32_e64 v7, -v115, s6                                // 00000000594C: D1050007 20000D73
	v_exp_f32_e32 v4, v4                                       // 000000005954: 7E084104
	v_exp_f32_e32 v5, v5                                       // 000000005958: 7E0A4105
	v_exp_f32_e32 v6, v6                                       // 00000000595C: 7E0C4106
	v_exp_f32_e32 v7, v7                                       // 000000005960: 7E0E4107
	v_add_f32_e64 v4, v4, 1.0                                  // 000000005964: D1010004 0001E504
	v_add_f32_e64 v5, v5, 1.0                                  // 00000000596C: D1010005 0001E505
	v_add_f32_e64 v6, v6, 1.0                                  // 000000005974: D1010006 0001E506
	v_add_f32_e64 v7, v7, 1.0                                  // 00000000597C: D1010007 0001E507
	v_rcp_f32_e32 v4, v4                                       // 000000005984: 7E084504
	v_rcp_f32_e32 v5, v5                                       // 000000005988: 7E0A4505
	v_rcp_f32_e32 v6, v6                                       // 00000000598C: 7E0C4506
	v_rcp_f32_e32 v7, v7                                       // 000000005990: 7E0E4507
	v_mul_f32_e32 v112, v112, v4                               // 000000005994: 0AE00970
	v_mul_f32_e32 v113, v113, v5                               // 000000005998: 0AE20B71
	v_mul_f32_e32 v114, v114, v6                               // 00000000599C: 0AE40D72
	v_mul_f32_e32 v115, v115, v7                               // 0000000059A0: 0AE60F73
	v_mul_f32_e32 v112, v112, v176                             // 0000000059A4: 0AE16170
	v_mul_f32_e32 v113, v113, v177                             // 0000000059A8: 0AE36371
	v_mul_f32_e32 v114, v114, v178                             // 0000000059AC: 0AE56572
	v_mul_f32_e32 v115, v115, v179                             // 0000000059B0: 0AE76773
	v_mul_f32_e64 v4, -v116, s6                                // 0000000059B4: D1050004 20000D74
	v_mul_f32_e64 v5, -v117, s6                                // 0000000059BC: D1050005 20000D75
	v_mul_f32_e64 v6, -v118, s6                                // 0000000059C4: D1050006 20000D76
	v_mul_f32_e64 v7, -v119, s6                                // 0000000059CC: D1050007 20000D77
	v_exp_f32_e32 v4, v4                                       // 0000000059D4: 7E084104
	v_exp_f32_e32 v5, v5                                       // 0000000059D8: 7E0A4105
	v_exp_f32_e32 v6, v6                                       // 0000000059DC: 7E0C4106
	v_exp_f32_e32 v7, v7                                       // 0000000059E0: 7E0E4107
	v_add_f32_e64 v4, v4, 1.0                                  // 0000000059E4: D1010004 0001E504
	v_add_f32_e64 v5, v5, 1.0                                  // 0000000059EC: D1010005 0001E505
	v_add_f32_e64 v6, v6, 1.0                                  // 0000000059F4: D1010006 0001E506
	v_add_f32_e64 v7, v7, 1.0                                  // 0000000059FC: D1010007 0001E507
	v_rcp_f32_e32 v4, v4                                       // 000000005A04: 7E084504
	v_rcp_f32_e32 v5, v5                                       // 000000005A08: 7E0A4505
	v_rcp_f32_e32 v6, v6                                       // 000000005A0C: 7E0C4506
	v_rcp_f32_e32 v7, v7                                       // 000000005A10: 7E0E4507
	v_mul_f32_e32 v116, v116, v4                               // 000000005A14: 0AE80974
	v_mul_f32_e32 v117, v117, v5                               // 000000005A18: 0AEA0B75
	v_mul_f32_e32 v118, v118, v6                               // 000000005A1C: 0AEC0D76
	v_mul_f32_e32 v119, v119, v7                               // 000000005A20: 0AEE0F77
	v_mul_f32_e32 v116, v116, v180                             // 000000005A24: 0AE96974
	v_mul_f32_e32 v117, v117, v181                             // 000000005A28: 0AEB6B75
	v_mul_f32_e32 v118, v118, v182                             // 000000005A2C: 0AED6D76
	v_mul_f32_e32 v119, v119, v183                             // 000000005A30: 0AEF6F77

0000000000005a34 <label_0C0D>:
	v_cmp_u_f32_e64 s[46:47], v56, v56                         // 000000005A34: D048002E 00027138
	v_add3_u32 v16, v56, v19, 1                                // 000000005A3C: D1FF0010 02062738
	v_cndmask_b32_e64 v4, v16, v18, s[46:47]                   // 000000005A44: D1000004 00BA2510
	v_cmp_u_f32_e64 s[46:47], v57, v57                         // 000000005A4C: D048002E 00027339
	v_add3_u32 v16, v57, v19, 1                                // 000000005A54: D1FF0010 02062739
	v_cndmask_b32_e64 v5, v16, v18, s[46:47]                   // 000000005A5C: D1000005 00BA2510
	v_perm_b32 v56, v5, v4, s52                                // 000000005A64: D1ED0038 00D20905
	v_cmp_u_f32_e64 s[46:47], v58, v58                         // 000000005A6C: D048002E 0002753A
	v_add3_u32 v16, v58, v19, 1                                // 000000005A74: D1FF0010 0206273A
	v_cndmask_b32_e64 v4, v16, v18, s[46:47]                   // 000000005A7C: D1000004 00BA2510
	v_cmp_u_f32_e64 s[46:47], v59, v59                         // 000000005A84: D048002E 0002773B
	v_add3_u32 v16, v59, v19, 1                                // 000000005A8C: D1FF0010 0206273B
	v_cndmask_b32_e64 v5, v16, v18, s[46:47]                   // 000000005A94: D1000005 00BA2510
	v_perm_b32 v57, v5, v4, s52                                // 000000005A9C: D1ED0039 00D20905
	v_cmp_u_f32_e64 s[46:47], v60, v60                         // 000000005AA4: D048002E 0002793C
	v_add3_u32 v16, v60, v19, 1                                // 000000005AAC: D1FF0010 0206273C
	v_cndmask_b32_e64 v4, v16, v18, s[46:47]                   // 000000005AB4: D1000004 00BA2510
	v_cmp_u_f32_e64 s[46:47], v61, v61                         // 000000005ABC: D048002E 00027B3D
	v_add3_u32 v16, v61, v19, 1                                // 000000005AC4: D1FF0010 0206273D
	v_cndmask_b32_e64 v5, v16, v18, s[46:47]                   // 000000005ACC: D1000005 00BA2510
	v_perm_b32 v58, v5, v4, s52                                // 000000005AD4: D1ED003A 00D20905
	v_cmp_u_f32_e64 s[46:47], v62, v62                         // 000000005ADC: D048002E 00027D3E
	v_add3_u32 v16, v62, v19, 1                                // 000000005AE4: D1FF0010 0206273E
	v_cndmask_b32_e64 v4, v16, v18, s[46:47]                   // 000000005AEC: D1000004 00BA2510
	v_cmp_u_f32_e64 s[46:47], v63, v63                         // 000000005AF4: D048002E 00027F3F
	v_add3_u32 v16, v63, v19, 1                                // 000000005AFC: D1FF0010 0206273F
	v_cndmask_b32_e64 v5, v16, v18, s[46:47]                   // 000000005B04: D1000005 00BA2510
	v_perm_b32 v59, v5, v4, s52                                // 000000005B0C: D1ED003B 00D20905
	v_cmp_u_f32_e64 s[46:47], v64, v64                         // 000000005B14: D048002E 00028140
	v_add3_u32 v16, v64, v19, 1                                // 000000005B1C: D1FF0010 02062740
	v_cndmask_b32_e64 v4, v16, v18, s[46:47]                   // 000000005B24: D1000004 00BA2510
	v_cmp_u_f32_e64 s[46:47], v65, v65                         // 000000005B2C: D048002E 00028341
	v_add3_u32 v16, v65, v19, 1                                // 000000005B34: D1FF0010 02062741
	v_cndmask_b32_e64 v5, v16, v18, s[46:47]                   // 000000005B3C: D1000005 00BA2510
	v_perm_b32 v60, v5, v4, s52                                // 000000005B44: D1ED003C 00D20905
	v_cmp_u_f32_e64 s[46:47], v66, v66                         // 000000005B4C: D048002E 00028542
	v_add3_u32 v16, v66, v19, 1                                // 000000005B54: D1FF0010 02062742
	v_cndmask_b32_e64 v4, v16, v18, s[46:47]                   // 000000005B5C: D1000004 00BA2510
	v_cmp_u_f32_e64 s[46:47], v67, v67                         // 000000005B64: D048002E 00028743
	v_add3_u32 v16, v67, v19, 1                                // 000000005B6C: D1FF0010 02062743
	v_cndmask_b32_e64 v5, v16, v18, s[46:47]                   // 000000005B74: D1000005 00BA2510
	v_perm_b32 v61, v5, v4, s52                                // 000000005B7C: D1ED003D 00D20905
	v_cmp_u_f32_e64 s[46:47], v68, v68                         // 000000005B84: D048002E 00028944
	v_add3_u32 v16, v68, v19, 1                                // 000000005B8C: D1FF0010 02062744
	v_cndmask_b32_e64 v4, v16, v18, s[46:47]                   // 000000005B94: D1000004 00BA2510
	v_cmp_u_f32_e64 s[46:47], v69, v69                         // 000000005B9C: D048002E 00028B45
	v_add3_u32 v16, v69, v19, 1                                // 000000005BA4: D1FF0010 02062745
	v_cndmask_b32_e64 v5, v16, v18, s[46:47]                   // 000000005BAC: D1000005 00BA2510
	v_perm_b32 v62, v5, v4, s52                                // 000000005BB4: D1ED003E 00D20905
	v_cmp_u_f32_e64 s[46:47], v70, v70                         // 000000005BBC: D048002E 00028D46
	v_add3_u32 v16, v70, v19, 1                                // 000000005BC4: D1FF0010 02062746
	v_cndmask_b32_e64 v4, v16, v18, s[46:47]                   // 000000005BCC: D1000004 00BA2510
	v_cmp_u_f32_e64 s[46:47], v71, v71                         // 000000005BD4: D048002E 00028F47
	v_add3_u32 v16, v71, v19, 1                                // 000000005BDC: D1FF0010 02062747
	v_cndmask_b32_e64 v5, v16, v18, s[46:47]                   // 000000005BE4: D1000005 00BA2510
	v_perm_b32 v63, v5, v4, s52                                // 000000005BEC: D1ED003F 00D20905
	v_cmp_u_f32_e64 s[46:47], v72, v72                         // 000000005BF4: D048002E 00029148
	v_add3_u32 v16, v72, v19, 1                                // 000000005BFC: D1FF0010 02062748
	v_cndmask_b32_e64 v4, v16, v18, s[46:47]                   // 000000005C04: D1000004 00BA2510
	v_cmp_u_f32_e64 s[46:47], v73, v73                         // 000000005C0C: D048002E 00029349
	v_add3_u32 v16, v73, v19, 1                                // 000000005C14: D1FF0010 02062749
	v_cndmask_b32_e64 v5, v16, v18, s[46:47]                   // 000000005C1C: D1000005 00BA2510
	v_perm_b32 v64, v5, v4, s52                                // 000000005C24: D1ED0040 00D20905
	v_cmp_u_f32_e64 s[46:47], v74, v74                         // 000000005C2C: D048002E 0002954A
	v_add3_u32 v16, v74, v19, 1                                // 000000005C34: D1FF0010 0206274A
	v_cndmask_b32_e64 v4, v16, v18, s[46:47]                   // 000000005C3C: D1000004 00BA2510
	v_cmp_u_f32_e64 s[46:47], v75, v75                         // 000000005C44: D048002E 0002974B
	v_add3_u32 v16, v75, v19, 1                                // 000000005C4C: D1FF0010 0206274B
	v_cndmask_b32_e64 v5, v16, v18, s[46:47]                   // 000000005C54: D1000005 00BA2510
	v_perm_b32 v65, v5, v4, s52                                // 000000005C5C: D1ED0041 00D20905
	v_cmp_u_f32_e64 s[46:47], v76, v76                         // 000000005C64: D048002E 0002994C
	v_add3_u32 v16, v76, v19, 1                                // 000000005C6C: D1FF0010 0206274C
	v_cndmask_b32_e64 v4, v16, v18, s[46:47]                   // 000000005C74: D1000004 00BA2510
	v_cmp_u_f32_e64 s[46:47], v77, v77                         // 000000005C7C: D048002E 00029B4D
	v_add3_u32 v16, v77, v19, 1                                // 000000005C84: D1FF0010 0206274D
	v_cndmask_b32_e64 v5, v16, v18, s[46:47]                   // 000000005C8C: D1000005 00BA2510
	v_perm_b32 v66, v5, v4, s52                                // 000000005C94: D1ED0042 00D20905
	v_cmp_u_f32_e64 s[46:47], v78, v78                         // 000000005C9C: D048002E 00029D4E
	v_add3_u32 v16, v78, v19, 1                                // 000000005CA4: D1FF0010 0206274E
	v_cndmask_b32_e64 v4, v16, v18, s[46:47]                   // 000000005CAC: D1000004 00BA2510
	v_cmp_u_f32_e64 s[46:47], v79, v79                         // 000000005CB4: D048002E 00029F4F
	v_add3_u32 v16, v79, v19, 1                                // 000000005CBC: D1FF0010 0206274F
	v_cndmask_b32_e64 v5, v16, v18, s[46:47]                   // 000000005CC4: D1000005 00BA2510
	v_perm_b32 v67, v5, v4, s52                                // 000000005CCC: D1ED0043 00D20905
	v_cmp_u_f32_e64 s[46:47], v80, v80                         // 000000005CD4: D048002E 0002A150
	v_add3_u32 v16, v80, v19, 1                                // 000000005CDC: D1FF0010 02062750
	v_cndmask_b32_e64 v4, v16, v18, s[46:47]                   // 000000005CE4: D1000004 00BA2510
	v_cmp_u_f32_e64 s[46:47], v81, v81                         // 000000005CEC: D048002E 0002A351
	v_add3_u32 v16, v81, v19, 1                                // 000000005CF4: D1FF0010 02062751
	v_cndmask_b32_e64 v5, v16, v18, s[46:47]                   // 000000005CFC: D1000005 00BA2510
	v_perm_b32 v68, v5, v4, s52                                // 000000005D04: D1ED0044 00D20905
	v_cmp_u_f32_e64 s[46:47], v82, v82                         // 000000005D0C: D048002E 0002A552
	v_add3_u32 v16, v82, v19, 1                                // 000000005D14: D1FF0010 02062752
	v_cndmask_b32_e64 v4, v16, v18, s[46:47]                   // 000000005D1C: D1000004 00BA2510
	v_cmp_u_f32_e64 s[46:47], v83, v83                         // 000000005D24: D048002E 0002A753
	v_add3_u32 v16, v83, v19, 1                                // 000000005D2C: D1FF0010 02062753
	v_cndmask_b32_e64 v5, v16, v18, s[46:47]                   // 000000005D34: D1000005 00BA2510
	v_perm_b32 v69, v5, v4, s52                                // 000000005D3C: D1ED0045 00D20905
	v_cmp_u_f32_e64 s[46:47], v84, v84                         // 000000005D44: D048002E 0002A954
	v_add3_u32 v16, v84, v19, 1                                // 000000005D4C: D1FF0010 02062754
	v_cndmask_b32_e64 v4, v16, v18, s[46:47]                   // 000000005D54: D1000004 00BA2510
	v_cmp_u_f32_e64 s[46:47], v85, v85                         // 000000005D5C: D048002E 0002AB55
	v_add3_u32 v16, v85, v19, 1                                // 000000005D64: D1FF0010 02062755
	v_cndmask_b32_e64 v5, v16, v18, s[46:47]                   // 000000005D6C: D1000005 00BA2510
	v_perm_b32 v70, v5, v4, s52                                // 000000005D74: D1ED0046 00D20905
	v_cmp_u_f32_e64 s[46:47], v86, v86                         // 000000005D7C: D048002E 0002AD56
	v_add3_u32 v16, v86, v19, 1                                // 000000005D84: D1FF0010 02062756
	v_cndmask_b32_e64 v4, v16, v18, s[46:47]                   // 000000005D8C: D1000004 00BA2510
	v_cmp_u_f32_e64 s[46:47], v87, v87                         // 000000005D94: D048002E 0002AF57
	v_add3_u32 v16, v87, v19, 1                                // 000000005D9C: D1FF0010 02062757
	v_cndmask_b32_e64 v5, v16, v18, s[46:47]                   // 000000005DA4: D1000005 00BA2510
	v_perm_b32 v71, v5, v4, s52                                // 000000005DAC: D1ED0047 00D20905
	v_cmp_u_f32_e64 s[46:47], v88, v88                         // 000000005DB4: D048002E 0002B158
	v_add3_u32 v16, v88, v19, 1                                // 000000005DBC: D1FF0010 02062758
	v_cndmask_b32_e64 v4, v16, v18, s[46:47]                   // 000000005DC4: D1000004 00BA2510
	v_cmp_u_f32_e64 s[46:47], v89, v89                         // 000000005DCC: D048002E 0002B359
	v_add3_u32 v16, v89, v19, 1                                // 000000005DD4: D1FF0010 02062759
	v_cndmask_b32_e64 v5, v16, v18, s[46:47]                   // 000000005DDC: D1000005 00BA2510
	v_perm_b32 v72, v5, v4, s52                                // 000000005DE4: D1ED0048 00D20905
	v_cmp_u_f32_e64 s[46:47], v90, v90                         // 000000005DEC: D048002E 0002B55A
	v_add3_u32 v16, v90, v19, 1                                // 000000005DF4: D1FF0010 0206275A
	v_cndmask_b32_e64 v4, v16, v18, s[46:47]                   // 000000005DFC: D1000004 00BA2510
	v_cmp_u_f32_e64 s[46:47], v91, v91                         // 000000005E04: D048002E 0002B75B
	v_add3_u32 v16, v91, v19, 1                                // 000000005E0C: D1FF0010 0206275B
	v_cndmask_b32_e64 v5, v16, v18, s[46:47]                   // 000000005E14: D1000005 00BA2510
	v_perm_b32 v73, v5, v4, s52                                // 000000005E1C: D1ED0049 00D20905
	v_cmp_u_f32_e64 s[46:47], v92, v92                         // 000000005E24: D048002E 0002B95C
	v_add3_u32 v16, v92, v19, 1                                // 000000005E2C: D1FF0010 0206275C
	v_cndmask_b32_e64 v4, v16, v18, s[46:47]                   // 000000005E34: D1000004 00BA2510
	v_cmp_u_f32_e64 s[46:47], v93, v93                         // 000000005E3C: D048002E 0002BB5D
	v_add3_u32 v16, v93, v19, 1                                // 000000005E44: D1FF0010 0206275D
	v_cndmask_b32_e64 v5, v16, v18, s[46:47]                   // 000000005E4C: D1000005 00BA2510
	v_perm_b32 v74, v5, v4, s52                                // 000000005E54: D1ED004A 00D20905
	v_cmp_u_f32_e64 s[46:47], v94, v94                         // 000000005E5C: D048002E 0002BD5E
	v_add3_u32 v16, v94, v19, 1                                // 000000005E64: D1FF0010 0206275E
	v_cndmask_b32_e64 v4, v16, v18, s[46:47]                   // 000000005E6C: D1000004 00BA2510
	v_cmp_u_f32_e64 s[46:47], v95, v95                         // 000000005E74: D048002E 0002BF5F
	v_add3_u32 v16, v95, v19, 1                                // 000000005E7C: D1FF0010 0206275F
	v_cndmask_b32_e64 v5, v16, v18, s[46:47]                   // 000000005E84: D1000005 00BA2510
	v_perm_b32 v75, v5, v4, s52                                // 000000005E8C: D1ED004B 00D20905
	v_cmp_u_f32_e64 s[46:47], v96, v96                         // 000000005E94: D048002E 0002C160
	v_add3_u32 v16, v96, v19, 1                                // 000000005E9C: D1FF0010 02062760
	v_cndmask_b32_e64 v4, v16, v18, s[46:47]                   // 000000005EA4: D1000004 00BA2510
	v_cmp_u_f32_e64 s[46:47], v97, v97                         // 000000005EAC: D048002E 0002C361
	v_add3_u32 v16, v97, v19, 1                                // 000000005EB4: D1FF0010 02062761
	v_cndmask_b32_e64 v5, v16, v18, s[46:47]                   // 000000005EBC: D1000005 00BA2510
	v_perm_b32 v76, v5, v4, s52                                // 000000005EC4: D1ED004C 00D20905
	v_cmp_u_f32_e64 s[46:47], v98, v98                         // 000000005ECC: D048002E 0002C562
	v_add3_u32 v16, v98, v19, 1                                // 000000005ED4: D1FF0010 02062762
	v_cndmask_b32_e64 v4, v16, v18, s[46:47]                   // 000000005EDC: D1000004 00BA2510
	v_cmp_u_f32_e64 s[46:47], v99, v99                         // 000000005EE4: D048002E 0002C763
	v_add3_u32 v16, v99, v19, 1                                // 000000005EEC: D1FF0010 02062763
	v_cndmask_b32_e64 v5, v16, v18, s[46:47]                   // 000000005EF4: D1000005 00BA2510
	v_perm_b32 v77, v5, v4, s52                                // 000000005EFC: D1ED004D 00D20905
	v_cmp_u_f32_e64 s[46:47], v100, v100                       // 000000005F04: D048002E 0002C964
	v_add3_u32 v16, v100, v19, 1                               // 000000005F0C: D1FF0010 02062764
	v_cndmask_b32_e64 v4, v16, v18, s[46:47]                   // 000000005F14: D1000004 00BA2510
	v_cmp_u_f32_e64 s[46:47], v101, v101                       // 000000005F1C: D048002E 0002CB65
	v_add3_u32 v16, v101, v19, 1                               // 000000005F24: D1FF0010 02062765
	v_cndmask_b32_e64 v5, v16, v18, s[46:47]                   // 000000005F2C: D1000005 00BA2510
	v_perm_b32 v78, v5, v4, s52                                // 000000005F34: D1ED004E 00D20905
	v_cmp_u_f32_e64 s[46:47], v102, v102                       // 000000005F3C: D048002E 0002CD66
	v_add3_u32 v16, v102, v19, 1                               // 000000005F44: D1FF0010 02062766
	v_cndmask_b32_e64 v4, v16, v18, s[46:47]                   // 000000005F4C: D1000004 00BA2510
	v_cmp_u_f32_e64 s[46:47], v103, v103                       // 000000005F54: D048002E 0002CF67
	v_add3_u32 v16, v103, v19, 1                               // 000000005F5C: D1FF0010 02062767
	v_cndmask_b32_e64 v5, v16, v18, s[46:47]                   // 000000005F64: D1000005 00BA2510
	v_perm_b32 v79, v5, v4, s52                                // 000000005F6C: D1ED004F 00D20905
	v_cmp_u_f32_e64 s[46:47], v104, v104                       // 000000005F74: D048002E 0002D168
	v_add3_u32 v16, v104, v19, 1                               // 000000005F7C: D1FF0010 02062768
	v_cndmask_b32_e64 v4, v16, v18, s[46:47]                   // 000000005F84: D1000004 00BA2510
	v_cmp_u_f32_e64 s[46:47], v105, v105                       // 000000005F8C: D048002E 0002D369
	v_add3_u32 v16, v105, v19, 1                               // 000000005F94: D1FF0010 02062769
	v_cndmask_b32_e64 v5, v16, v18, s[46:47]                   // 000000005F9C: D1000005 00BA2510
	v_perm_b32 v80, v5, v4, s52                                // 000000005FA4: D1ED0050 00D20905
	v_cmp_u_f32_e64 s[46:47], v106, v106                       // 000000005FAC: D048002E 0002D56A
	v_add3_u32 v16, v106, v19, 1                               // 000000005FB4: D1FF0010 0206276A
	v_cndmask_b32_e64 v4, v16, v18, s[46:47]                   // 000000005FBC: D1000004 00BA2510
	v_cmp_u_f32_e64 s[46:47], v107, v107                       // 000000005FC4: D048002E 0002D76B
	v_add3_u32 v16, v107, v19, 1                               // 000000005FCC: D1FF0010 0206276B
	v_cndmask_b32_e64 v5, v16, v18, s[46:47]                   // 000000005FD4: D1000005 00BA2510
	v_perm_b32 v81, v5, v4, s52                                // 000000005FDC: D1ED0051 00D20905
	v_cmp_u_f32_e64 s[46:47], v108, v108                       // 000000005FE4: D048002E 0002D96C
	v_add3_u32 v16, v108, v19, 1                               // 000000005FEC: D1FF0010 0206276C
	v_cndmask_b32_e64 v4, v16, v18, s[46:47]                   // 000000005FF4: D1000004 00BA2510
	v_cmp_u_f32_e64 s[46:47], v109, v109                       // 000000005FFC: D048002E 0002DB6D
	v_add3_u32 v16, v109, v19, 1                               // 000000006004: D1FF0010 0206276D
	v_cndmask_b32_e64 v5, v16, v18, s[46:47]                   // 00000000600C: D1000005 00BA2510
	v_perm_b32 v82, v5, v4, s52                                // 000000006014: D1ED0052 00D20905
	v_cmp_u_f32_e64 s[46:47], v110, v110                       // 00000000601C: D048002E 0002DD6E
	v_add3_u32 v16, v110, v19, 1                               // 000000006024: D1FF0010 0206276E
	v_cndmask_b32_e64 v4, v16, v18, s[46:47]                   // 00000000602C: D1000004 00BA2510
	v_cmp_u_f32_e64 s[46:47], v111, v111                       // 000000006034: D048002E 0002DF6F
	v_add3_u32 v16, v111, v19, 1                               // 00000000603C: D1FF0010 0206276F
	v_cndmask_b32_e64 v5, v16, v18, s[46:47]                   // 000000006044: D1000005 00BA2510
	v_perm_b32 v83, v5, v4, s52                                // 00000000604C: D1ED0053 00D20905
	v_cmp_u_f32_e64 s[46:47], v112, v112                       // 000000006054: D048002E 0002E170
	v_add3_u32 v16, v112, v19, 1                               // 00000000605C: D1FF0010 02062770
	v_cndmask_b32_e64 v4, v16, v18, s[46:47]                   // 000000006064: D1000004 00BA2510
	v_cmp_u_f32_e64 s[46:47], v113, v113                       // 00000000606C: D048002E 0002E371
	v_add3_u32 v16, v113, v19, 1                               // 000000006074: D1FF0010 02062771
	v_cndmask_b32_e64 v5, v16, v18, s[46:47]                   // 00000000607C: D1000005 00BA2510
	v_perm_b32 v84, v5, v4, s52                                // 000000006084: D1ED0054 00D20905
	v_cmp_u_f32_e64 s[46:47], v114, v114                       // 00000000608C: D048002E 0002E572
	v_add3_u32 v16, v114, v19, 1                               // 000000006094: D1FF0010 02062772
	v_cndmask_b32_e64 v4, v16, v18, s[46:47]                   // 00000000609C: D1000004 00BA2510
	v_cmp_u_f32_e64 s[46:47], v115, v115                       // 0000000060A4: D048002E 0002E773
	v_add3_u32 v16, v115, v19, 1                               // 0000000060AC: D1FF0010 02062773
	v_cndmask_b32_e64 v5, v16, v18, s[46:47]                   // 0000000060B4: D1000005 00BA2510
	v_perm_b32 v85, v5, v4, s52                                // 0000000060BC: D1ED0055 00D20905
	v_cmp_u_f32_e64 s[46:47], v116, v116                       // 0000000060C4: D048002E 0002E974
	v_add3_u32 v16, v116, v19, 1                               // 0000000060CC: D1FF0010 02062774
	v_cndmask_b32_e64 v4, v16, v18, s[46:47]                   // 0000000060D4: D1000004 00BA2510
	v_cmp_u_f32_e64 s[46:47], v117, v117                       // 0000000060DC: D048002E 0002EB75
	v_add3_u32 v16, v117, v19, 1                               // 0000000060E4: D1FF0010 02062775
	v_cndmask_b32_e64 v5, v16, v18, s[46:47]                   // 0000000060EC: D1000005 00BA2510
	v_perm_b32 v86, v5, v4, s52                                // 0000000060F4: D1ED0056 00D20905
	v_cmp_u_f32_e64 s[46:47], v118, v118                       // 0000000060FC: D048002E 0002ED76
	v_add3_u32 v16, v118, v19, 1                               // 000000006104: D1FF0010 02062776
	v_cndmask_b32_e64 v4, v16, v18, s[46:47]                   // 00000000610C: D1000004 00BA2510
	v_cmp_u_f32_e64 s[46:47], v119, v119                       // 000000006114: D048002E 0002EF77
	v_add3_u32 v16, v119, v19, 1                               // 00000000611C: D1FF0010 02062777
	v_cndmask_b32_e64 v5, v16, v18, s[46:47]                   // 000000006124: D1000005 00BA2510
	v_perm_b32 v87, v5, v4, s52                                // 00000000612C: D1ED0057 00D20905
	ds_write_b64 v20, v[56:57]                                 // 000000006134: D89A0000 00003814
	ds_write_b64 v20, v[58:59] offset:8704                     // 00000000613C: D89A2200 00003A14
	ds_write_b64 v20, v[60:61] offset:17408                    // 000000006144: D89A4400 00003C14
	ds_write_b64 v20, v[62:63] offset:26112                    // 00000000614C: D89A6600 00003E14
	ds_write_b64 v20, v[64:65] offset:2176                     // 000000006154: D89A0880 00004014
	ds_write_b64 v20, v[66:67] offset:10880                    // 00000000615C: D89A2A80 00004214
	ds_write_b64 v20, v[68:69] offset:19584                    // 000000006164: D89A4C80 00004414
	ds_write_b64 v20, v[70:71] offset:28288                    // 00000000616C: D89A6E80 00004614
	ds_write_b64 v20, v[72:73] offset:4352                     // 000000006174: D89A1100 00004814
	ds_write_b64 v20, v[74:75] offset:13056                    // 00000000617C: D89A3300 00004A14
	ds_write_b64 v20, v[76:77] offset:21760                    // 000000006184: D89A5500 00004C14
	ds_write_b64 v20, v[78:79] offset:30464                    // 00000000618C: D89A7700 00004E14
	ds_write_b64 v20, v[80:81] offset:6528                     // 000000006194: D89A1980 00005014
	ds_write_b64 v20, v[82:83] offset:15232                    // 00000000619C: D89A3B80 00005214
	ds_write_b64 v20, v[84:85] offset:23936                    // 0000000061A4: D89A5D80 00005414
	ds_write_b64 v20, v[86:87] offset:32640                    // 0000000061AC: D89A7F80 00005614
	v_lshrrev_b32_e32 v4, 5, v0                                // 0000000061B4: 20080085
	v_xor_b32_e32 v5, 1, v4                                    // 0000000061B8: 2A0A0881
	s_mul_i32 s60, s65, 2                                      // 0000000061BC: 923C8241
	s_cmp_eq_u32 s88, 0                                        // 0000000061C0: BF068058
	s_cselect_b32 s61, 1, 4                                    // 0000000061C4: 853D8481
	s_mul_i32 s60, s61, s60                                    // 0000000061C8: 923C3C3D
	v_readlane_b32 s82, v3, 0                                  // 0000000061CC: D2890052 00010103
	s_lshr_b32 s61, s82, 24                                    // 0000000061D4: 8F3D9852
	s_and_b32 s82, s82, 0xffffff                               // 0000000061D8: 8652FF52 00FFFFFF
	s_mul_i32 s82, s82, s71                                    // 0000000061E0: 92524752
	s_mul_i32 s61, s60, s61                                    // 0000000061E4: 923D3D3C
	s_add_u32 s82, s82, s61                                    // 0000000061E8: 80523D52
	v_mul_lo_u32 v6, v5, s82                                   // 0000000061EC: D2850006 0000A505
	v_readlane_b32 s82, v3, 1                                  // 0000000061F4: D2890052 00010303
	s_lshr_b32 s61, s82, 24                                    // 0000000061FC: 8F3D9852
	s_and_b32 s82, s82, 0xffffff                               // 000000006200: 8652FF52 00FFFFFF
	s_mul_i32 s82, s82, s71                                    // 000000006208: 92524752
	s_mul_i32 s61, s60, s61                                    // 00000000620C: 923D3D3C
	s_add_u32 s82, s82, s61                                    // 000000006210: 80523D52
	v_mul_lo_u32 v7, v4, s82                                   // 000000006214: D2850007 0000A504
	v_add_u32_e32 v44, v6, v7                                  // 00000000621C: 68580F06
	v_readlane_b32 s82, v3, 2                                  // 000000006220: D2890052 00010503
	s_lshr_b32 s61, s82, 24                                    // 000000006228: 8F3D9852
	s_and_b32 s82, s82, 0xffffff                               // 00000000622C: 8652FF52 00FFFFFF
	s_mul_i32 s82, s82, s71                                    // 000000006234: 92524752
	s_mul_i32 s61, s60, s61                                    // 000000006238: 923D3D3C
	s_add_u32 s82, s82, s61                                    // 00000000623C: 80523D52
	v_mul_lo_u32 v6, v5, s82                                   // 000000006240: D2850006 0000A505
	v_readlane_b32 s82, v3, 3                                  // 000000006248: D2890052 00010703
	s_lshr_b32 s61, s82, 24                                    // 000000006250: 8F3D9852
	s_and_b32 s82, s82, 0xffffff                               // 000000006254: 8652FF52 00FFFFFF
	s_mul_i32 s82, s82, s71                                    // 00000000625C: 92524752
	s_mul_i32 s61, s60, s61                                    // 000000006260: 923D3D3C
	s_add_u32 s82, s82, s61                                    // 000000006264: 80523D52
	v_mul_lo_u32 v7, v4, s82                                   // 000000006268: D2850007 0000A504
	v_add_u32_e32 v45, v6, v7                                  // 000000006270: 685A0F06
	v_readlane_b32 s82, v3, 4                                  // 000000006274: D2890052 00010903
	s_lshr_b32 s61, s82, 24                                    // 00000000627C: 8F3D9852
	s_and_b32 s82, s82, 0xffffff                               // 000000006280: 8652FF52 00FFFFFF
	s_mul_i32 s82, s82, s71                                    // 000000006288: 92524752
	s_mul_i32 s61, s60, s61                                    // 00000000628C: 923D3D3C
	s_add_u32 s82, s82, s61                                    // 000000006290: 80523D52
	v_mul_lo_u32 v6, v5, s82                                   // 000000006294: D2850006 0000A505
	v_readlane_b32 s82, v3, 5                                  // 00000000629C: D2890052 00010B03
	s_lshr_b32 s61, s82, 24                                    // 0000000062A4: 8F3D9852
	s_and_b32 s82, s82, 0xffffff                               // 0000000062A8: 8652FF52 00FFFFFF
	s_mul_i32 s82, s82, s71                                    // 0000000062B0: 92524752
	s_mul_i32 s61, s60, s61                                    // 0000000062B4: 923D3D3C
	s_add_u32 s82, s82, s61                                    // 0000000062B8: 80523D52
	v_mul_lo_u32 v7, v4, s82                                   // 0000000062BC: D2850007 0000A504
	v_add_u32_e32 v46, v6, v7                                  // 0000000062C4: 685C0F06
	v_readlane_b32 s82, v3, 6                                  // 0000000062C8: D2890052 00010D03
	s_lshr_b32 s61, s82, 24                                    // 0000000062D0: 8F3D9852
	s_and_b32 s82, s82, 0xffffff                               // 0000000062D4: 8652FF52 00FFFFFF
	s_mul_i32 s82, s82, s71                                    // 0000000062DC: 92524752
	s_mul_i32 s61, s60, s61                                    // 0000000062E0: 923D3D3C
	s_add_u32 s82, s82, s61                                    // 0000000062E4: 80523D52
	v_mul_lo_u32 v6, v5, s82                                   // 0000000062E8: D2850006 0000A505
	v_readlane_b32 s82, v3, 7                                  // 0000000062F0: D2890052 00010F03
	s_lshr_b32 s61, s82, 24                                    // 0000000062F8: 8F3D9852
	s_and_b32 s82, s82, 0xffffff                               // 0000000062FC: 8652FF52 00FFFFFF
	s_mul_i32 s82, s82, s71                                    // 000000006304: 92524752
	s_mul_i32 s61, s60, s61                                    // 000000006308: 923D3D3C
	s_add_u32 s82, s82, s61                                    // 00000000630C: 80523D52
	v_mul_lo_u32 v7, v4, s82                                   // 000000006310: D2850007 0000A504
	v_add_u32_e32 v47, v6, v7                                  // 000000006318: 685E0F06
	v_readlane_b32 s82, v3, 8                                  // 00000000631C: D2890052 00011103
	s_lshr_b32 s61, s82, 24                                    // 000000006324: 8F3D9852
	s_and_b32 s82, s82, 0xffffff                               // 000000006328: 8652FF52 00FFFFFF
	s_mul_i32 s82, s82, s71                                    // 000000006330: 92524752
	s_mul_i32 s61, s60, s61                                    // 000000006334: 923D3D3C
	s_add_u32 s82, s82, s61                                    // 000000006338: 80523D52
	v_mul_lo_u32 v6, v5, s82                                   // 00000000633C: D2850006 0000A505
	v_readlane_b32 s82, v3, 9                                  // 000000006344: D2890052 00011303
	s_lshr_b32 s61, s82, 24                                    // 00000000634C: 8F3D9852
	s_and_b32 s82, s82, 0xffffff                               // 000000006350: 8652FF52 00FFFFFF
	s_mul_i32 s82, s82, s71                                    // 000000006358: 92524752
	s_mul_i32 s61, s60, s61                                    // 00000000635C: 923D3D3C
	s_add_u32 s82, s82, s61                                    // 000000006360: 80523D52
	v_mul_lo_u32 v7, v4, s82                                   // 000000006364: D2850007 0000A504
	v_add_u32_e32 v48, v6, v7                                  // 00000000636C: 68600F06
	v_readlane_b32 s82, v3, 10                                 // 000000006370: D2890052 00011503
	s_lshr_b32 s61, s82, 24                                    // 000000006378: 8F3D9852
	s_and_b32 s82, s82, 0xffffff                               // 00000000637C: 8652FF52 00FFFFFF
	s_mul_i32 s82, s82, s71                                    // 000000006384: 92524752
	s_mul_i32 s61, s60, s61                                    // 000000006388: 923D3D3C
	s_add_u32 s82, s82, s61                                    // 00000000638C: 80523D52
	v_mul_lo_u32 v6, v5, s82                                   // 000000006390: D2850006 0000A505
	v_readlane_b32 s82, v3, 11                                 // 000000006398: D2890052 00011703
	s_lshr_b32 s61, s82, 24                                    // 0000000063A0: 8F3D9852
	s_and_b32 s82, s82, 0xffffff                               // 0000000063A4: 8652FF52 00FFFFFF
	s_mul_i32 s82, s82, s71                                    // 0000000063AC: 92524752
	s_mul_i32 s61, s60, s61                                    // 0000000063B0: 923D3D3C
	s_add_u32 s82, s82, s61                                    // 0000000063B4: 80523D52
	v_mul_lo_u32 v7, v4, s82                                   // 0000000063B8: D2850007 0000A504
	v_add_u32_e32 v49, v6, v7                                  // 0000000063C0: 68620F06
	v_readlane_b32 s82, v3, 12                                 // 0000000063C4: D2890052 00011903
	s_lshr_b32 s61, s82, 24                                    // 0000000063CC: 8F3D9852
	s_and_b32 s82, s82, 0xffffff                               // 0000000063D0: 8652FF52 00FFFFFF
	s_mul_i32 s82, s82, s71                                    // 0000000063D8: 92524752
	s_mul_i32 s61, s60, s61                                    // 0000000063DC: 923D3D3C
	s_add_u32 s82, s82, s61                                    // 0000000063E0: 80523D52
	v_mul_lo_u32 v6, v5, s82                                   // 0000000063E4: D2850006 0000A505
	v_readlane_b32 s82, v3, 13                                 // 0000000063EC: D2890052 00011B03
	s_lshr_b32 s61, s82, 24                                    // 0000000063F4: 8F3D9852
	s_and_b32 s82, s82, 0xffffff                               // 0000000063F8: 8652FF52 00FFFFFF
	s_mul_i32 s82, s82, s71                                    // 000000006400: 92524752
	s_mul_i32 s61, s60, s61                                    // 000000006404: 923D3D3C
	s_add_u32 s82, s82, s61                                    // 000000006408: 80523D52
	v_mul_lo_u32 v7, v4, s82                                   // 00000000640C: D2850007 0000A504
	v_add_u32_e32 v50, v6, v7                                  // 000000006414: 68640F06
	v_readlane_b32 s82, v3, 14                                 // 000000006418: D2890052 00011D03
	s_lshr_b32 s61, s82, 24                                    // 000000006420: 8F3D9852
	s_and_b32 s82, s82, 0xffffff                               // 000000006424: 8652FF52 00FFFFFF
	s_mul_i32 s82, s82, s71                                    // 00000000642C: 92524752
	s_mul_i32 s61, s60, s61                                    // 000000006430: 923D3D3C
	s_add_u32 s82, s82, s61                                    // 000000006434: 80523D52
	v_mul_lo_u32 v6, v5, s82                                   // 000000006438: D2850006 0000A505
	v_readlane_b32 s82, v3, 15                                 // 000000006440: D2890052 00011F03
	s_lshr_b32 s61, s82, 24                                    // 000000006448: 8F3D9852
	s_and_b32 s82, s82, 0xffffff                               // 00000000644C: 8652FF52 00FFFFFF
	s_mul_i32 s82, s82, s71                                    // 000000006454: 92524752
	s_mul_i32 s61, s60, s61                                    // 000000006458: 923D3D3C
	s_add_u32 s82, s82, s61                                    // 00000000645C: 80523D52
	v_mul_lo_u32 v7, v4, s82                                   // 000000006460: D2850007 0000A504
	v_add_u32_e32 v51, v6, v7                                  // 000000006468: 68660F06
	v_and_b32_e32 v4, 31, v0                                   // 00000000646C: 2608009F
	v_lshrrev_b32_e32 v4, 1, v4                                // 000000006470: 20080881
	s_cmp_eq_u32 s88, 0                                        // 000000006474: BF068058
	s_cselect_b32 s61, 2, 4                                    // 000000006478: 853D8482
	v_mul_lo_u32 v4, v4, s61                                   // 00000000647C: D2850004 00007B04
	v_and_b32_e64 v5, v0, 1                                    // 000000006484: D1130005 00010300
	v_add_u32_e32 v4, v4, v5                                   // 00000000648C: 68080B04
	v_lshlrev_b32_e32 v4, 2, v4                                // 000000006490: 24080882
	v_add_u32_e32 v44, v44, v4                                 // 000000006494: 6858092C
	v_add_u32_e32 v45, v45, v4                                 // 000000006498: 685A092D
	v_add_u32_e32 v46, v46, v4                                 // 00000000649C: 685C092E
	v_add_u32_e32 v47, v47, v4                                 // 0000000064A0: 685E092F
	v_add_u32_e32 v48, v48, v4                                 // 0000000064A4: 68600930
	v_add_u32_e32 v49, v49, v4                                 // 0000000064A8: 68620931
	v_add_u32_e32 v50, v50, v4                                 // 0000000064AC: 68640932
	v_add_u32_e32 v51, v51, v4                                 // 0000000064B0: 68660933
	s_waitcnt lgkmcnt(0)                                       // 0000000064B4: BF8CC07F
	s_barrier                                                  // 0000000064B8: BF8A0000
	ds_read_b32 v56, v21                                       // 0000000064BC: D86C0000 38000015
	ds_read_b32 v57, v21 offset:64                             // 0000000064C4: D86C0040 39000015
	ds_read_b32 v58, v21 offset:2176                           // 0000000064CC: D86C0880 3A000015
	ds_read_b32 v59, v21 offset:2240                           // 0000000064D4: D86C08C0 3B000015
	ds_read_b32 v60, v21 offset:4352                           // 0000000064DC: D86C1100 3C000015
	ds_read_b32 v61, v21 offset:4416                           // 0000000064E4: D86C1140 3D000015
	ds_read_b32 v62, v21 offset:6528                           // 0000000064EC: D86C1980 3E000015
	ds_read_b32 v63, v21 offset:6592                           // 0000000064F4: D86C19C0 3F000015
	ds_read_b32 v64, v21 offset:8704                           // 0000000064FC: D86C2200 40000015
	ds_read_b32 v65, v21 offset:8768                           // 000000006504: D86C2240 41000015
	ds_read_b32 v66, v21 offset:10880                          // 00000000650C: D86C2A80 42000015
	ds_read_b32 v67, v21 offset:10944                          // 000000006514: D86C2AC0 43000015
	ds_read_b32 v68, v21 offset:13056                          // 00000000651C: D86C3300 44000015
	ds_read_b32 v69, v21 offset:13120                          // 000000006524: D86C3340 45000015
	ds_read_b32 v70, v21 offset:15232                          // 00000000652C: D86C3B80 46000015
	ds_read_b32 v71, v21 offset:15296                          // 000000006534: D86C3BC0 47000015
	ds_read_b32 v72, v21 offset:17408                          // 00000000653C: D86C4400 48000015
	ds_read_b32 v73, v21 offset:17472                          // 000000006544: D86C4440 49000015
	ds_read_b32 v74, v21 offset:19584                          // 00000000654C: D86C4C80 4A000015
	ds_read_b32 v75, v21 offset:19648                          // 000000006554: D86C4CC0 4B000015
	ds_read_b32 v76, v21 offset:21760                          // 00000000655C: D86C5500 4C000015
	ds_read_b32 v77, v21 offset:21824                          // 000000006564: D86C5540 4D000015
	ds_read_b32 v78, v21 offset:23936                          // 00000000656C: D86C5D80 4E000015
	ds_read_b32 v79, v21 offset:24000                          // 000000006574: D86C5DC0 4F000015
	ds_read_b32 v80, v21 offset:26112                          // 00000000657C: D86C6600 50000015
	ds_read_b32 v81, v21 offset:26176                          // 000000006584: D86C6640 51000015
	ds_read_b32 v82, v21 offset:28288                          // 00000000658C: D86C6E80 52000015
	ds_read_b32 v83, v21 offset:28352                          // 000000006594: D86C6EC0 53000015
	ds_read_b32 v84, v21 offset:30464                          // 00000000659C: D86C7700 54000015
	ds_read_b32 v85, v21 offset:30528                          // 0000000065A4: D86C7740 55000015
	ds_read_b32 v86, v21 offset:32640                          // 0000000065AC: D86C7F80 56000015
	ds_read_b32 v87, v21 offset:32704                          // 0000000065B4: D86C7FC0 57000015
	s_waitcnt lgkmcnt(0)                                       // 0000000065BC: BF8CC07F
	s_mov_b32 s36, -1                                          // 0000000065C0: BEA400C1
	s_mov_b32 s37, -1                                          // 0000000065C4: BEA500C1
	v_mov_b32_e32 v7, 0                                        // 0000000065C8: 7E0E0280
	s_or_b32 s9, s9, 0x40000                                   // 0000000065CC: 8709FF09 00040000
	s_mov_b64 exec, s[36:37]                                   // 0000000065D4: BEFE0124
	v_mov_b32_e32 v6, v44                                      // 0000000065D8: 7E0C032C
	s_mov_b64 s[60:61], 0                                      // 0000000065DC: BEBC0180
	v_readlane_b32 s82, v3, 0                                  // 0000000065E0: D2890052 00010103
	s_and_b32 s82, s82, 0xffffff                               // 0000000065E8: 8652FF52 00FFFFFF
	s_cmp_lt_u32 s82, s66                                      // 0000000065F0: BF0A4252
	s_cselect_b32 s20, s36, s60                                // 0000000065F4: 85143C24
	v_readlane_b32 s82, v3, 1                                  // 0000000065F8: D2890052 00010303
	s_and_b32 s82, s82, 0xffffff                               // 000000006600: 8652FF52 00FFFFFF
	s_cmp_lt_u32 s82, s66                                      // 000000006608: BF0A4252
	s_cselect_b32 s21, s36, s60                                // 00000000660C: 85153C24
	s_mov_b64 exec, s[20:21]                                   // 000000006610: BEFE0114
	buffer_store_dword v56, v6, s[8:11], 0 offen               // 000000006614: E0701000 80023806
	buffer_store_dword v58, v6, s[8:11], 0 offen offset:128    // 00000000661C: E0701080 80023A06
	buffer_store_dword v60, v6, s[8:11], 0 offen offset:256    // 000000006624: E0701100 80023C06
	buffer_store_dword v62, v6, s[8:11], 0 offen offset:384    // 00000000662C: E0701180 80023E06
	s_mov_b64 exec, s[36:37]                                   // 000000006634: BEFE0124
	v_mov_b32_e32 v6, v45                                      // 000000006638: 7E0C032D
	s_mov_b64 s[60:61], 0                                      // 00000000663C: BEBC0180
	v_readlane_b32 s82, v3, 2                                  // 000000006640: D2890052 00010503
	s_and_b32 s82, s82, 0xffffff                               // 000000006648: 8652FF52 00FFFFFF
	s_cmp_lt_u32 s82, s66                                      // 000000006650: BF0A4252
	s_cselect_b32 s20, s36, s60                                // 000000006654: 85143C24
	v_readlane_b32 s82, v3, 3                                  // 000000006658: D2890052 00010703
	s_and_b32 s82, s82, 0xffffff                               // 000000006660: 8652FF52 00FFFFFF
	s_cmp_lt_u32 s82, s66                                      // 000000006668: BF0A4252
	s_cselect_b32 s21, s36, s60                                // 00000000666C: 85153C24
	s_mov_b64 exec, s[20:21]                                   // 000000006670: BEFE0114
	buffer_store_dword v57, v6, s[8:11], 0 offen               // 000000006674: E0701000 80023906
	buffer_store_dword v59, v6, s[8:11], 0 offen offset:128    // 00000000667C: E0701080 80023B06
	buffer_store_dword v61, v6, s[8:11], 0 offen offset:256    // 000000006684: E0701100 80023D06
	buffer_store_dword v63, v6, s[8:11], 0 offen offset:384    // 00000000668C: E0701180 80023F06
	s_mov_b64 exec, s[36:37]                                   // 000000006694: BEFE0124
	v_mov_b32_e32 v6, v46                                      // 000000006698: 7E0C032E
	s_mov_b64 s[60:61], 0                                      // 00000000669C: BEBC0180
	v_readlane_b32 s82, v3, 4                                  // 0000000066A0: D2890052 00010903
	s_and_b32 s82, s82, 0xffffff                               // 0000000066A8: 8652FF52 00FFFFFF
	s_cmp_lt_u32 s82, s66                                      // 0000000066B0: BF0A4252
	s_cselect_b32 s20, s36, s60                                // 0000000066B4: 85143C24
	v_readlane_b32 s82, v3, 5                                  // 0000000066B8: D2890052 00010B03
	s_and_b32 s82, s82, 0xffffff                               // 0000000066C0: 8652FF52 00FFFFFF
	s_cmp_lt_u32 s82, s66                                      // 0000000066C8: BF0A4252
	s_cselect_b32 s21, s36, s60                                // 0000000066CC: 85153C24
	s_mov_b64 exec, s[20:21]                                   // 0000000066D0: BEFE0114
	buffer_store_dword v64, v6, s[8:11], 0 offen               // 0000000066D4: E0701000 80024006
	buffer_store_dword v66, v6, s[8:11], 0 offen offset:128    // 0000000066DC: E0701080 80024206
	buffer_store_dword v68, v6, s[8:11], 0 offen offset:256    // 0000000066E4: E0701100 80024406
	buffer_store_dword v70, v6, s[8:11], 0 offen offset:384    // 0000000066EC: E0701180 80024606
	s_mov_b64 exec, s[36:37]                                   // 0000000066F4: BEFE0124
	v_mov_b32_e32 v6, v47                                      // 0000000066F8: 7E0C032F
	s_mov_b64 s[60:61], 0                                      // 0000000066FC: BEBC0180
	v_readlane_b32 s82, v3, 6                                  // 000000006700: D2890052 00010D03
	s_and_b32 s82, s82, 0xffffff                               // 000000006708: 8652FF52 00FFFFFF
	s_cmp_lt_u32 s82, s66                                      // 000000006710: BF0A4252
	s_cselect_b32 s20, s36, s60                                // 000000006714: 85143C24
	v_readlane_b32 s82, v3, 7                                  // 000000006718: D2890052 00010F03
	s_and_b32 s82, s82, 0xffffff                               // 000000006720: 8652FF52 00FFFFFF
	s_cmp_lt_u32 s82, s66                                      // 000000006728: BF0A4252
	s_cselect_b32 s21, s36, s60                                // 00000000672C: 85153C24
	s_mov_b64 exec, s[20:21]                                   // 000000006730: BEFE0114
	buffer_store_dword v65, v6, s[8:11], 0 offen               // 000000006734: E0701000 80024106
	buffer_store_dword v67, v6, s[8:11], 0 offen offset:128    // 00000000673C: E0701080 80024306
	buffer_store_dword v69, v6, s[8:11], 0 offen offset:256    // 000000006744: E0701100 80024506
	buffer_store_dword v71, v6, s[8:11], 0 offen offset:384    // 00000000674C: E0701180 80024706
	s_mov_b64 exec, s[36:37]                                   // 000000006754: BEFE0124
	v_mov_b32_e32 v6, v48                                      // 000000006758: 7E0C0330
	s_mov_b64 s[60:61], 0                                      // 00000000675C: BEBC0180
	v_readlane_b32 s82, v3, 8                                  // 000000006760: D2890052 00011103
	s_and_b32 s82, s82, 0xffffff                               // 000000006768: 8652FF52 00FFFFFF
	s_cmp_lt_u32 s82, s66                                      // 000000006770: BF0A4252
	s_cselect_b32 s20, s36, s60                                // 000000006774: 85143C24
	v_readlane_b32 s82, v3, 9                                  // 000000006778: D2890052 00011303
	s_and_b32 s82, s82, 0xffffff                               // 000000006780: 8652FF52 00FFFFFF
	s_cmp_lt_u32 s82, s66                                      // 000000006788: BF0A4252
	s_cselect_b32 s21, s36, s60                                // 00000000678C: 85153C24
	s_mov_b64 exec, s[20:21]                                   // 000000006790: BEFE0114
	buffer_store_dword v72, v6, s[8:11], 0 offen               // 000000006794: E0701000 80024806
	buffer_store_dword v74, v6, s[8:11], 0 offen offset:128    // 00000000679C: E0701080 80024A06
	buffer_store_dword v76, v6, s[8:11], 0 offen offset:256    // 0000000067A4: E0701100 80024C06
	buffer_store_dword v78, v6, s[8:11], 0 offen offset:384    // 0000000067AC: E0701180 80024E06
	s_mov_b64 exec, s[36:37]                                   // 0000000067B4: BEFE0124
	v_mov_b32_e32 v6, v49                                      // 0000000067B8: 7E0C0331
	s_mov_b64 s[60:61], 0                                      // 0000000067BC: BEBC0180
	v_readlane_b32 s82, v3, 10                                 // 0000000067C0: D2890052 00011503
	s_and_b32 s82, s82, 0xffffff                               // 0000000067C8: 8652FF52 00FFFFFF
	s_cmp_lt_u32 s82, s66                                      // 0000000067D0: BF0A4252
	s_cselect_b32 s20, s36, s60                                // 0000000067D4: 85143C24
	v_readlane_b32 s82, v3, 11                                 // 0000000067D8: D2890052 00011703
	s_and_b32 s82, s82, 0xffffff                               // 0000000067E0: 8652FF52 00FFFFFF
	s_cmp_lt_u32 s82, s66                                      // 0000000067E8: BF0A4252
	s_cselect_b32 s21, s36, s60                                // 0000000067EC: 85153C24
	s_mov_b64 exec, s[20:21]                                   // 0000000067F0: BEFE0114
	buffer_store_dword v73, v6, s[8:11], 0 offen               // 0000000067F4: E0701000 80024906
	buffer_store_dword v75, v6, s[8:11], 0 offen offset:128    // 0000000067FC: E0701080 80024B06
	buffer_store_dword v77, v6, s[8:11], 0 offen offset:256    // 000000006804: E0701100 80024D06
	buffer_store_dword v79, v6, s[8:11], 0 offen offset:384    // 00000000680C: E0701180 80024F06
	s_mov_b64 exec, s[36:37]                                   // 000000006814: BEFE0124
	v_mov_b32_e32 v6, v50                                      // 000000006818: 7E0C0332
	s_mov_b64 s[60:61], 0                                      // 00000000681C: BEBC0180
	v_readlane_b32 s82, v3, 12                                 // 000000006820: D2890052 00011903
	s_and_b32 s82, s82, 0xffffff                               // 000000006828: 8652FF52 00FFFFFF
	s_cmp_lt_u32 s82, s66                                      // 000000006830: BF0A4252
	s_cselect_b32 s20, s36, s60                                // 000000006834: 85143C24
	v_readlane_b32 s82, v3, 13                                 // 000000006838: D2890052 00011B03
	s_and_b32 s82, s82, 0xffffff                               // 000000006840: 8652FF52 00FFFFFF
	s_cmp_lt_u32 s82, s66                                      // 000000006848: BF0A4252
	s_cselect_b32 s21, s36, s60                                // 00000000684C: 85153C24
	s_mov_b64 exec, s[20:21]                                   // 000000006850: BEFE0114
	buffer_store_dword v80, v6, s[8:11], 0 offen               // 000000006854: E0701000 80025006
	buffer_store_dword v82, v6, s[8:11], 0 offen offset:128    // 00000000685C: E0701080 80025206
	buffer_store_dword v84, v6, s[8:11], 0 offen offset:256    // 000000006864: E0701100 80025406
	buffer_store_dword v86, v6, s[8:11], 0 offen offset:384    // 00000000686C: E0701180 80025606
	s_mov_b64 exec, s[36:37]                                   // 000000006874: BEFE0124
	v_mov_b32_e32 v6, v51                                      // 000000006878: 7E0C0333
	s_mov_b64 s[60:61], 0                                      // 00000000687C: BEBC0180
	v_readlane_b32 s82, v3, 14                                 // 000000006880: D2890052 00011D03
	s_and_b32 s82, s82, 0xffffff                               // 000000006888: 8652FF52 00FFFFFF
	s_cmp_lt_u32 s82, s66                                      // 000000006890: BF0A4252
	s_cselect_b32 s20, s36, s60                                // 000000006894: 85143C24
	v_readlane_b32 s82, v3, 15                                 // 000000006898: D2890052 00011F03
	s_and_b32 s82, s82, 0xffffff                               // 0000000068A0: 8652FF52 00FFFFFF
	s_cmp_lt_u32 s82, s66                                      // 0000000068A8: BF0A4252
	s_cselect_b32 s21, s36, s60                                // 0000000068AC: 85153C24
	s_mov_b64 exec, s[20:21]                                   // 0000000068B0: BEFE0114
	buffer_store_dword v81, v6, s[8:11], 0 offen               // 0000000068B4: E0701000 80025106
	buffer_store_dword v83, v6, s[8:11], 0 offen offset:128    // 0000000068BC: E0701080 80025306
	buffer_store_dword v85, v6, s[8:11], 0 offen offset:256    // 0000000068C4: E0701100 80025506
	buffer_store_dword v87, v6, s[8:11], 0 offen offset:384    // 0000000068CC: E0701180 80025706
	s_mov_b64 exec, s[36:37]                                   // 0000000068D4: BEFE0124
	s_branch label_277E                                        // 0000000068D8: BF8217C4

00000000000068dc <label_0FB7>:
	ds_write_b64 v20, v[56:57]                                 // 0000000068DC: D89A0000 00003814
	ds_write_b64 v20, v[60:61] offset:8704                     // 0000000068E4: D89A2200 00003C14
	ds_write_b64 v20, v[64:65] offset:17408                    // 0000000068EC: D89A4400 00004014
	ds_write_b64 v20, v[68:69] offset:26112                    // 0000000068F4: D89A6600 00004414
	ds_write_b64 v20, v[72:73] offset:2176                     // 0000000068FC: D89A0880 00004814
	ds_write_b64 v20, v[76:77] offset:10880                    // 000000006904: D89A2A80 00004C14
	ds_write_b64 v20, v[80:81] offset:19584                    // 00000000690C: D89A4C80 00005014
	ds_write_b64 v20, v[84:85] offset:28288                    // 000000006914: D89A6E80 00005414
	ds_write_b64 v20, v[88:89] offset:4352                     // 00000000691C: D89A1100 00005814
	ds_write_b64 v20, v[92:93] offset:13056                    // 000000006924: D89A3300 00005C14
	ds_write_b64 v20, v[96:97] offset:21760                    // 00000000692C: D89A5500 00006014
	ds_write_b64 v20, v[100:101] offset:30464                  // 000000006934: D89A7700 00006414
	ds_write_b64 v20, v[104:105] offset:6528                   // 00000000693C: D89A1980 00006814
	ds_write_b64 v20, v[108:109] offset:15232                  // 000000006944: D89A3B80 00006C14
	ds_write_b64 v20, v[112:113] offset:23936                  // 00000000694C: D89A5D80 00007014
	ds_write_b64 v20, v[116:117] offset:32640                  // 000000006954: D89A7F80 00007414
	v_lshrrev_b32_e32 v4, 5, v0                                // 00000000695C: 20080085
	v_xor_b32_e32 v5, 1, v4                                    // 000000006960: 2A0A0881
	s_mul_i32 s60, s65, 2                                      // 000000006964: 923C8241
	s_cmp_eq_u32 s88, 0                                        // 000000006968: BF068058
	s_cselect_b32 s61, 1, 4                                    // 00000000696C: 853D8481
	s_mul_i32 s60, s61, s60                                    // 000000006970: 923C3C3D
	v_readlane_b32 s82, v3, 0                                  // 000000006974: D2890052 00010103
	s_lshr_b32 s61, s82, 24                                    // 00000000697C: 8F3D9852
	s_and_b32 s82, s82, 0xffffff                               // 000000006980: 8652FF52 00FFFFFF
	s_mul_i32 s82, s82, s71                                    // 000000006988: 92524752
	s_mul_i32 s61, s60, s61                                    // 00000000698C: 923D3D3C
	s_add_u32 s82, s82, s61                                    // 000000006990: 80523D52
	v_mul_lo_u32 v6, v5, s82                                   // 000000006994: D2850006 0000A505
	v_readlane_b32 s82, v3, 1                                  // 00000000699C: D2890052 00010303
	s_lshr_b32 s61, s82, 24                                    // 0000000069A4: 8F3D9852
	s_and_b32 s82, s82, 0xffffff                               // 0000000069A8: 8652FF52 00FFFFFF
	s_mul_i32 s82, s82, s71                                    // 0000000069B0: 92524752
	s_mul_i32 s61, s60, s61                                    // 0000000069B4: 923D3D3C
	s_add_u32 s82, s82, s61                                    // 0000000069B8: 80523D52
	v_mul_lo_u32 v7, v4, s82                                   // 0000000069BC: D2850007 0000A504
	v_add_u32_e32 v44, v6, v7                                  // 0000000069C4: 68580F06
	v_readlane_b32 s82, v3, 2                                  // 0000000069C8: D2890052 00010503
	s_lshr_b32 s61, s82, 24                                    // 0000000069D0: 8F3D9852
	s_and_b32 s82, s82, 0xffffff                               // 0000000069D4: 8652FF52 00FFFFFF
	s_mul_i32 s82, s82, s71                                    // 0000000069DC: 92524752
	s_mul_i32 s61, s60, s61                                    // 0000000069E0: 923D3D3C
	s_add_u32 s82, s82, s61                                    // 0000000069E4: 80523D52
	v_mul_lo_u32 v6, v5, s82                                   // 0000000069E8: D2850006 0000A505
	v_readlane_b32 s82, v3, 3                                  // 0000000069F0: D2890052 00010703
	s_lshr_b32 s61, s82, 24                                    // 0000000069F8: 8F3D9852
	s_and_b32 s82, s82, 0xffffff                               // 0000000069FC: 8652FF52 00FFFFFF
	s_mul_i32 s82, s82, s71                                    // 000000006A04: 92524752
	s_mul_i32 s61, s60, s61                                    // 000000006A08: 923D3D3C
	s_add_u32 s82, s82, s61                                    // 000000006A0C: 80523D52
	v_mul_lo_u32 v7, v4, s82                                   // 000000006A10: D2850007 0000A504
	v_add_u32_e32 v45, v6, v7                                  // 000000006A18: 685A0F06
	v_readlane_b32 s82, v3, 4                                  // 000000006A1C: D2890052 00010903
	s_lshr_b32 s61, s82, 24                                    // 000000006A24: 8F3D9852
	s_and_b32 s82, s82, 0xffffff                               // 000000006A28: 8652FF52 00FFFFFF
	s_mul_i32 s82, s82, s71                                    // 000000006A30: 92524752
	s_mul_i32 s61, s60, s61                                    // 000000006A34: 923D3D3C
	s_add_u32 s82, s82, s61                                    // 000000006A38: 80523D52
	v_mul_lo_u32 v6, v5, s82                                   // 000000006A3C: D2850006 0000A505
	v_readlane_b32 s82, v3, 5                                  // 000000006A44: D2890052 00010B03
	s_lshr_b32 s61, s82, 24                                    // 000000006A4C: 8F3D9852
	s_and_b32 s82, s82, 0xffffff                               // 000000006A50: 8652FF52 00FFFFFF
	s_mul_i32 s82, s82, s71                                    // 000000006A58: 92524752
	s_mul_i32 s61, s60, s61                                    // 000000006A5C: 923D3D3C
	s_add_u32 s82, s82, s61                                    // 000000006A60: 80523D52
	v_mul_lo_u32 v7, v4, s82                                   // 000000006A64: D2850007 0000A504
	v_add_u32_e32 v46, v6, v7                                  // 000000006A6C: 685C0F06
	v_readlane_b32 s82, v3, 6                                  // 000000006A70: D2890052 00010D03
	s_lshr_b32 s61, s82, 24                                    // 000000006A78: 8F3D9852
	s_and_b32 s82, s82, 0xffffff                               // 000000006A7C: 8652FF52 00FFFFFF
	s_mul_i32 s82, s82, s71                                    // 000000006A84: 92524752
	s_mul_i32 s61, s60, s61                                    // 000000006A88: 923D3D3C
	s_add_u32 s82, s82, s61                                    // 000000006A8C: 80523D52
	v_mul_lo_u32 v6, v5, s82                                   // 000000006A90: D2850006 0000A505
	v_readlane_b32 s82, v3, 7                                  // 000000006A98: D2890052 00010F03
	s_lshr_b32 s61, s82, 24                                    // 000000006AA0: 8F3D9852
	s_and_b32 s82, s82, 0xffffff                               // 000000006AA4: 8652FF52 00FFFFFF
	s_mul_i32 s82, s82, s71                                    // 000000006AAC: 92524752
	s_mul_i32 s61, s60, s61                                    // 000000006AB0: 923D3D3C
	s_add_u32 s82, s82, s61                                    // 000000006AB4: 80523D52
	v_mul_lo_u32 v7, v4, s82                                   // 000000006AB8: D2850007 0000A504
	v_add_u32_e32 v47, v6, v7                                  // 000000006AC0: 685E0F06
	v_readlane_b32 s82, v3, 8                                  // 000000006AC4: D2890052 00011103
	s_lshr_b32 s61, s82, 24                                    // 000000006ACC: 8F3D9852
	s_and_b32 s82, s82, 0xffffff                               // 000000006AD0: 8652FF52 00FFFFFF
	s_mul_i32 s82, s82, s71                                    // 000000006AD8: 92524752
	s_mul_i32 s61, s60, s61                                    // 000000006ADC: 923D3D3C
	s_add_u32 s82, s82, s61                                    // 000000006AE0: 80523D52
	v_mul_lo_u32 v6, v5, s82                                   // 000000006AE4: D2850006 0000A505
	v_readlane_b32 s82, v3, 9                                  // 000000006AEC: D2890052 00011303
	s_lshr_b32 s61, s82, 24                                    // 000000006AF4: 8F3D9852
	s_and_b32 s82, s82, 0xffffff                               // 000000006AF8: 8652FF52 00FFFFFF
	s_mul_i32 s82, s82, s71                                    // 000000006B00: 92524752
	s_mul_i32 s61, s60, s61                                    // 000000006B04: 923D3D3C
	s_add_u32 s82, s82, s61                                    // 000000006B08: 80523D52
	v_mul_lo_u32 v7, v4, s82                                   // 000000006B0C: D2850007 0000A504
	v_add_u32_e32 v48, v6, v7                                  // 000000006B14: 68600F06
	v_readlane_b32 s82, v3, 10                                 // 000000006B18: D2890052 00011503
	s_lshr_b32 s61, s82, 24                                    // 000000006B20: 8F3D9852
	s_and_b32 s82, s82, 0xffffff                               // 000000006B24: 8652FF52 00FFFFFF
	s_mul_i32 s82, s82, s71                                    // 000000006B2C: 92524752
	s_mul_i32 s61, s60, s61                                    // 000000006B30: 923D3D3C
	s_add_u32 s82, s82, s61                                    // 000000006B34: 80523D52
	v_mul_lo_u32 v6, v5, s82                                   // 000000006B38: D2850006 0000A505
	v_readlane_b32 s82, v3, 11                                 // 000000006B40: D2890052 00011703
	s_lshr_b32 s61, s82, 24                                    // 000000006B48: 8F3D9852
	s_and_b32 s82, s82, 0xffffff                               // 000000006B4C: 8652FF52 00FFFFFF
	s_mul_i32 s82, s82, s71                                    // 000000006B54: 92524752
	s_mul_i32 s61, s60, s61                                    // 000000006B58: 923D3D3C
	s_add_u32 s82, s82, s61                                    // 000000006B5C: 80523D52
	v_mul_lo_u32 v7, v4, s82                                   // 000000006B60: D2850007 0000A504
	v_add_u32_e32 v49, v6, v7                                  // 000000006B68: 68620F06
	v_readlane_b32 s82, v3, 12                                 // 000000006B6C: D2890052 00011903
	s_lshr_b32 s61, s82, 24                                    // 000000006B74: 8F3D9852
	s_and_b32 s82, s82, 0xffffff                               // 000000006B78: 8652FF52 00FFFFFF
	s_mul_i32 s82, s82, s71                                    // 000000006B80: 92524752
	s_mul_i32 s61, s60, s61                                    // 000000006B84: 923D3D3C
	s_add_u32 s82, s82, s61                                    // 000000006B88: 80523D52
	v_mul_lo_u32 v6, v5, s82                                   // 000000006B8C: D2850006 0000A505
	v_readlane_b32 s82, v3, 13                                 // 000000006B94: D2890052 00011B03
	s_lshr_b32 s61, s82, 24                                    // 000000006B9C: 8F3D9852
	s_and_b32 s82, s82, 0xffffff                               // 000000006BA0: 8652FF52 00FFFFFF
	s_mul_i32 s82, s82, s71                                    // 000000006BA8: 92524752
	s_mul_i32 s61, s60, s61                                    // 000000006BAC: 923D3D3C
	s_add_u32 s82, s82, s61                                    // 000000006BB0: 80523D52
	v_mul_lo_u32 v7, v4, s82                                   // 000000006BB4: D2850007 0000A504
	v_add_u32_e32 v50, v6, v7                                  // 000000006BBC: 68640F06
	v_readlane_b32 s82, v3, 14                                 // 000000006BC0: D2890052 00011D03
	s_lshr_b32 s61, s82, 24                                    // 000000006BC8: 8F3D9852
	s_and_b32 s82, s82, 0xffffff                               // 000000006BCC: 8652FF52 00FFFFFF
	s_mul_i32 s82, s82, s71                                    // 000000006BD4: 92524752
	s_mul_i32 s61, s60, s61                                    // 000000006BD8: 923D3D3C
	s_add_u32 s82, s82, s61                                    // 000000006BDC: 80523D52
	v_mul_lo_u32 v6, v5, s82                                   // 000000006BE0: D2850006 0000A505
	v_readlane_b32 s82, v3, 15                                 // 000000006BE8: D2890052 00011F03
	s_lshr_b32 s61, s82, 24                                    // 000000006BF0: 8F3D9852
	s_and_b32 s82, s82, 0xffffff                               // 000000006BF4: 8652FF52 00FFFFFF
	s_mul_i32 s82, s82, s71                                    // 000000006BFC: 92524752
	s_mul_i32 s61, s60, s61                                    // 000000006C00: 923D3D3C
	s_add_u32 s82, s82, s61                                    // 000000006C04: 80523D52
	v_mul_lo_u32 v7, v4, s82                                   // 000000006C08: D2850007 0000A504
	v_add_u32_e32 v51, v6, v7                                  // 000000006C10: 68660F06
	v_and_b32_e32 v4, 31, v0                                   // 000000006C14: 2608009F
	v_lshrrev_b32_e32 v4, 1, v4                                // 000000006C18: 20080881
	s_cmp_eq_u32 s88, 0                                        // 000000006C1C: BF068058
	s_cselect_b32 s61, 2, 4                                    // 000000006C20: 853D8482
	v_mul_lo_u32 v4, v4, s61                                   // 000000006C24: D2850004 00007B04
	v_and_b32_e64 v5, v0, 1                                    // 000000006C2C: D1130005 00010300
	v_add_u32_e32 v4, v4, v5                                   // 000000006C34: 68080B04
	v_lshlrev_b32_e32 v4, 2, v4                                // 000000006C38: 24080882
	v_add_u32_e32 v44, v44, v4                                 // 000000006C3C: 6858092C
	v_add_u32_e32 v45, v45, v4                                 // 000000006C40: 685A092D
	v_add_u32_e32 v46, v46, v4                                 // 000000006C44: 685C092E
	v_add_u32_e32 v47, v47, v4                                 // 000000006C48: 685E092F
	v_add_u32_e32 v48, v48, v4                                 // 000000006C4C: 68600930
	v_add_u32_e32 v49, v49, v4                                 // 000000006C50: 68620931
	v_add_u32_e32 v50, v50, v4                                 // 000000006C54: 68640932
	v_add_u32_e32 v51, v51, v4                                 // 000000006C58: 68660933
	s_waitcnt lgkmcnt(0)                                       // 000000006C5C: BF8CC07F
	s_barrier                                                  // 000000006C60: BF8A0000
	ds_read_b32 v56, v21                                       // 000000006C64: D86C0000 38000015
	ds_read_b32 v57, v21 offset:64                             // 000000006C6C: D86C0040 39000015
	ds_read_b32 v60, v21 offset:2176                           // 000000006C74: D86C0880 3C000015
	ds_read_b32 v61, v21 offset:2240                           // 000000006C7C: D86C08C0 3D000015
	ds_read_b32 v64, v21 offset:4352                           // 000000006C84: D86C1100 40000015
	ds_read_b32 v65, v21 offset:4416                           // 000000006C8C: D86C1140 41000015
	ds_read_b32 v68, v21 offset:6528                           // 000000006C94: D86C1980 44000015
	ds_read_b32 v69, v21 offset:6592                           // 000000006C9C: D86C19C0 45000015
	ds_read_b32 v72, v21 offset:8704                           // 000000006CA4: D86C2200 48000015
	ds_read_b32 v73, v21 offset:8768                           // 000000006CAC: D86C2240 49000015
	ds_read_b32 v76, v21 offset:10880                          // 000000006CB4: D86C2A80 4C000015
	ds_read_b32 v77, v21 offset:10944                          // 000000006CBC: D86C2AC0 4D000015
	ds_read_b32 v80, v21 offset:13056                          // 000000006CC4: D86C3300 50000015
	ds_read_b32 v81, v21 offset:13120                          // 000000006CCC: D86C3340 51000015
	ds_read_b32 v84, v21 offset:15232                          // 000000006CD4: D86C3B80 54000015
	ds_read_b32 v85, v21 offset:15296                          // 000000006CDC: D86C3BC0 55000015
	ds_read_b32 v88, v21 offset:17408                          // 000000006CE4: D86C4400 58000015
	ds_read_b32 v89, v21 offset:17472                          // 000000006CEC: D86C4440 59000015
	ds_read_b32 v92, v21 offset:19584                          // 000000006CF4: D86C4C80 5C000015
	ds_read_b32 v93, v21 offset:19648                          // 000000006CFC: D86C4CC0 5D000015
	ds_read_b32 v96, v21 offset:21760                          // 000000006D04: D86C5500 60000015
	ds_read_b32 v97, v21 offset:21824                          // 000000006D0C: D86C5540 61000015
	ds_read_b32 v100, v21 offset:23936                         // 000000006D14: D86C5D80 64000015
	ds_read_b32 v101, v21 offset:24000                         // 000000006D1C: D86C5DC0 65000015
	ds_read_b32 v104, v21 offset:26112                         // 000000006D24: D86C6600 68000015
	ds_read_b32 v105, v21 offset:26176                         // 000000006D2C: D86C6640 69000015
	ds_read_b32 v108, v21 offset:28288                         // 000000006D34: D86C6E80 6C000015
	ds_read_b32 v109, v21 offset:28352                         // 000000006D3C: D86C6EC0 6D000015
	ds_read_b32 v112, v21 offset:30464                         // 000000006D44: D86C7700 70000015
	ds_read_b32 v113, v21 offset:30528                         // 000000006D4C: D86C7740 71000015
	ds_read_b32 v116, v21 offset:32640                         // 000000006D54: D86C7F80 74000015
	ds_read_b32 v117, v21 offset:32704                         // 000000006D5C: D86C7FC0 75000015
	s_waitcnt lgkmcnt(0)                                       // 000000006D64: BF8CC07F
	s_mov_b32 s36, -1                                          // 000000006D68: BEA400C1
	s_mov_b32 s37, -1                                          // 000000006D6C: BEA500C1
	v_mov_b32_e32 v7, 0                                        // 000000006D70: 7E0E0280
	s_mov_b64 exec, s[36:37]                                   // 000000006D74: BEFE0124
	v_mov_b32_e32 v6, v44                                      // 000000006D78: 7E0C032C
	s_mov_b64 s[60:61], 0                                      // 000000006D7C: BEBC0180
	v_readlane_b32 s82, v3, 0                                  // 000000006D80: D2890052 00010103
	s_and_b32 s82, s82, 0xffffff                               // 000000006D88: 8652FF52 00FFFFFF
	s_cmp_lt_u32 s82, s66                                      // 000000006D90: BF0A4252
	s_cselect_b32 s20, s36, s60                                // 000000006D94: 85143C24
	v_readlane_b32 s82, v3, 1                                  // 000000006D98: D2890052 00010303
	s_and_b32 s82, s82, 0xffffff                               // 000000006DA0: 8652FF52 00FFFFFF
	s_cmp_lt_u32 s82, s66                                      // 000000006DA8: BF0A4252
	s_cselect_b32 s21, s36, s60                                // 000000006DAC: 85153C24
	s_mov_b64 exec, s[20:21]                                   // 000000006DB0: BEFE0114
	global_atomic_add_f32 v6, v56, s[8:9]                      // 000000006DB4: DD348000 00083806
	global_atomic_add_f32 v6, v60, s[8:9] offset:256           // 000000006DBC: DD348100 00083C06
	global_atomic_add_f32 v6, v64, s[8:9] offset:512           // 000000006DC4: DD348200 00084006
	global_atomic_add_f32 v6, v68, s[8:9] offset:768           // 000000006DCC: DD348300 00084406
	s_mov_b64 exec, s[36:37]                                   // 000000006DD4: BEFE0124
	v_mov_b32_e32 v6, v45                                      // 000000006DD8: 7E0C032D
	s_mov_b64 s[60:61], 0                                      // 000000006DDC: BEBC0180
	v_readlane_b32 s82, v3, 2                                  // 000000006DE0: D2890052 00010503
	s_and_b32 s82, s82, 0xffffff                               // 000000006DE8: 8652FF52 00FFFFFF
	s_cmp_lt_u32 s82, s66                                      // 000000006DF0: BF0A4252
	s_cselect_b32 s20, s36, s60                                // 000000006DF4: 85143C24
	v_readlane_b32 s82, v3, 3                                  // 000000006DF8: D2890052 00010703
	s_and_b32 s82, s82, 0xffffff                               // 000000006E00: 8652FF52 00FFFFFF
	s_cmp_lt_u32 s82, s66                                      // 000000006E08: BF0A4252
	s_cselect_b32 s21, s36, s60                                // 000000006E0C: 85153C24
	s_mov_b64 exec, s[20:21]                                   // 000000006E10: BEFE0114
	global_atomic_add_f32 v6, v57, s[8:9]                      // 000000006E14: DD348000 00083906
	global_atomic_add_f32 v6, v61, s[8:9] offset:256           // 000000006E1C: DD348100 00083D06
	global_atomic_add_f32 v6, v65, s[8:9] offset:512           // 000000006E24: DD348200 00084106
	global_atomic_add_f32 v6, v69, s[8:9] offset:768           // 000000006E2C: DD348300 00084506
	s_mov_b64 exec, s[36:37]                                   // 000000006E34: BEFE0124
	v_mov_b32_e32 v6, v46                                      // 000000006E38: 7E0C032E
	s_mov_b64 s[60:61], 0                                      // 000000006E3C: BEBC0180
	v_readlane_b32 s82, v3, 4                                  // 000000006E40: D2890052 00010903
	s_and_b32 s82, s82, 0xffffff                               // 000000006E48: 8652FF52 00FFFFFF
	s_cmp_lt_u32 s82, s66                                      // 000000006E50: BF0A4252
	s_cselect_b32 s20, s36, s60                                // 000000006E54: 85143C24
	v_readlane_b32 s82, v3, 5                                  // 000000006E58: D2890052 00010B03
	s_and_b32 s82, s82, 0xffffff                               // 000000006E60: 8652FF52 00FFFFFF
	s_cmp_lt_u32 s82, s66                                      // 000000006E68: BF0A4252
	s_cselect_b32 s21, s36, s60                                // 000000006E6C: 85153C24
	s_mov_b64 exec, s[20:21]                                   // 000000006E70: BEFE0114
	global_atomic_add_f32 v6, v72, s[8:9]                      // 000000006E74: DD348000 00084806
	global_atomic_add_f32 v6, v76, s[8:9] offset:256           // 000000006E7C: DD348100 00084C06
	global_atomic_add_f32 v6, v80, s[8:9] offset:512           // 000000006E84: DD348200 00085006
	global_atomic_add_f32 v6, v84, s[8:9] offset:768           // 000000006E8C: DD348300 00085406
	s_mov_b64 exec, s[36:37]                                   // 000000006E94: BEFE0124
	v_mov_b32_e32 v6, v47                                      // 000000006E98: 7E0C032F
	s_mov_b64 s[60:61], 0                                      // 000000006E9C: BEBC0180
	v_readlane_b32 s82, v3, 6                                  // 000000006EA0: D2890052 00010D03
	s_and_b32 s82, s82, 0xffffff                               // 000000006EA8: 8652FF52 00FFFFFF
	s_cmp_lt_u32 s82, s66                                      // 000000006EB0: BF0A4252
	s_cselect_b32 s20, s36, s60                                // 000000006EB4: 85143C24
	v_readlane_b32 s82, v3, 7                                  // 000000006EB8: D2890052 00010F03
	s_and_b32 s82, s82, 0xffffff                               // 000000006EC0: 8652FF52 00FFFFFF
	s_cmp_lt_u32 s82, s66                                      // 000000006EC8: BF0A4252
	s_cselect_b32 s21, s36, s60                                // 000000006ECC: 85153C24
	s_mov_b64 exec, s[20:21]                                   // 000000006ED0: BEFE0114
	global_atomic_add_f32 v6, v73, s[8:9]                      // 000000006ED4: DD348000 00084906
	global_atomic_add_f32 v6, v77, s[8:9] offset:256           // 000000006EDC: DD348100 00084D06
	global_atomic_add_f32 v6, v81, s[8:9] offset:512           // 000000006EE4: DD348200 00085106
	global_atomic_add_f32 v6, v85, s[8:9] offset:768           // 000000006EEC: DD348300 00085506
	s_mov_b64 exec, s[36:37]                                   // 000000006EF4: BEFE0124
	v_mov_b32_e32 v6, v48                                      // 000000006EF8: 7E0C0330
	s_mov_b64 s[60:61], 0                                      // 000000006EFC: BEBC0180
	v_readlane_b32 s82, v3, 8                                  // 000000006F00: D2890052 00011103
	s_and_b32 s82, s82, 0xffffff                               // 000000006F08: 8652FF52 00FFFFFF
	s_cmp_lt_u32 s82, s66                                      // 000000006F10: BF0A4252
	s_cselect_b32 s20, s36, s60                                // 000000006F14: 85143C24
	v_readlane_b32 s82, v3, 9                                  // 000000006F18: D2890052 00011303
	s_and_b32 s82, s82, 0xffffff                               // 000000006F20: 8652FF52 00FFFFFF
	s_cmp_lt_u32 s82, s66                                      // 000000006F28: BF0A4252
	s_cselect_b32 s21, s36, s60                                // 000000006F2C: 85153C24
	s_mov_b64 exec, s[20:21]                                   // 000000006F30: BEFE0114
	global_atomic_add_f32 v6, v88, s[8:9]                      // 000000006F34: DD348000 00085806
	global_atomic_add_f32 v6, v92, s[8:9] offset:256           // 000000006F3C: DD348100 00085C06
	global_atomic_add_f32 v6, v96, s[8:9] offset:512           // 000000006F44: DD348200 00086006
	global_atomic_add_f32 v6, v100, s[8:9] offset:768          // 000000006F4C: DD348300 00086406
	s_mov_b64 exec, s[36:37]                                   // 000000006F54: BEFE0124
	v_mov_b32_e32 v6, v49                                      // 000000006F58: 7E0C0331
	s_mov_b64 s[60:61], 0                                      // 000000006F5C: BEBC0180
	v_readlane_b32 s82, v3, 10                                 // 000000006F60: D2890052 00011503
	s_and_b32 s82, s82, 0xffffff                               // 000000006F68: 8652FF52 00FFFFFF
	s_cmp_lt_u32 s82, s66                                      // 000000006F70: BF0A4252
	s_cselect_b32 s20, s36, s60                                // 000000006F74: 85143C24
	v_readlane_b32 s82, v3, 11                                 // 000000006F78: D2890052 00011703
	s_and_b32 s82, s82, 0xffffff                               // 000000006F80: 8652FF52 00FFFFFF
	s_cmp_lt_u32 s82, s66                                      // 000000006F88: BF0A4252
	s_cselect_b32 s21, s36, s60                                // 000000006F8C: 85153C24
	s_mov_b64 exec, s[20:21]                                   // 000000006F90: BEFE0114
	global_atomic_add_f32 v6, v89, s[8:9]                      // 000000006F94: DD348000 00085906
	global_atomic_add_f32 v6, v93, s[8:9] offset:256           // 000000006F9C: DD348100 00085D06
	global_atomic_add_f32 v6, v97, s[8:9] offset:512           // 000000006FA4: DD348200 00086106
	global_atomic_add_f32 v6, v101, s[8:9] offset:768          // 000000006FAC: DD348300 00086506
	s_mov_b64 exec, s[36:37]                                   // 000000006FB4: BEFE0124
	v_mov_b32_e32 v6, v50                                      // 000000006FB8: 7E0C0332
	s_mov_b64 s[60:61], 0                                      // 000000006FBC: BEBC0180
	v_readlane_b32 s82, v3, 12                                 // 000000006FC0: D2890052 00011903
	s_and_b32 s82, s82, 0xffffff                               // 000000006FC8: 8652FF52 00FFFFFF
	s_cmp_lt_u32 s82, s66                                      // 000000006FD0: BF0A4252
	s_cselect_b32 s20, s36, s60                                // 000000006FD4: 85143C24
	v_readlane_b32 s82, v3, 13                                 // 000000006FD8: D2890052 00011B03
	s_and_b32 s82, s82, 0xffffff                               // 000000006FE0: 8652FF52 00FFFFFF
	s_cmp_lt_u32 s82, s66                                      // 000000006FE8: BF0A4252
	s_cselect_b32 s21, s36, s60                                // 000000006FEC: 85153C24
	s_mov_b64 exec, s[20:21]                                   // 000000006FF0: BEFE0114
	global_atomic_add_f32 v6, v104, s[8:9]                     // 000000006FF4: DD348000 00086806
	global_atomic_add_f32 v6, v108, s[8:9] offset:256          // 000000006FFC: DD348100 00086C06
	global_atomic_add_f32 v6, v112, s[8:9] offset:512          // 000000007004: DD348200 00087006
	global_atomic_add_f32 v6, v116, s[8:9] offset:768          // 00000000700C: DD348300 00087406
	s_mov_b64 exec, s[36:37]                                   // 000000007014: BEFE0124
	v_mov_b32_e32 v6, v51                                      // 000000007018: 7E0C0333
	s_mov_b64 s[60:61], 0                                      // 00000000701C: BEBC0180
	v_readlane_b32 s82, v3, 14                                 // 000000007020: D2890052 00011D03
	s_and_b32 s82, s82, 0xffffff                               // 000000007028: 8652FF52 00FFFFFF
	s_cmp_lt_u32 s82, s66                                      // 000000007030: BF0A4252
	s_cselect_b32 s20, s36, s60                                // 000000007034: 85143C24
	v_readlane_b32 s82, v3, 15                                 // 000000007038: D2890052 00011F03
	s_and_b32 s82, s82, 0xffffff                               // 000000007040: 8652FF52 00FFFFFF
	s_cmp_lt_u32 s82, s66                                      // 000000007048: BF0A4252
	s_cselect_b32 s21, s36, s60                                // 00000000704C: 85153C24
	s_mov_b64 exec, s[20:21]                                   // 000000007050: BEFE0114
	global_atomic_add_f32 v6, v105, s[8:9]                     // 000000007054: DD348000 00086906
	global_atomic_add_f32 v6, v109, s[8:9] offset:256          // 00000000705C: DD348100 00086D06
	global_atomic_add_f32 v6, v113, s[8:9] offset:512          // 000000007064: DD348200 00087106
	global_atomic_add_f32 v6, v117, s[8:9] offset:768          // 00000000706C: DD348300 00087506
	s_mov_b64 exec, s[36:37]                                   // 000000007074: BEFE0124
	ds_write_b64 v20, v[58:59]                                 // 000000007078: D89A0000 00003A14
	ds_write_b64 v20, v[62:63] offset:8704                     // 000000007080: D89A2200 00003E14
	ds_write_b64 v20, v[66:67] offset:17408                    // 000000007088: D89A4400 00004214
	ds_write_b64 v20, v[70:71] offset:26112                    // 000000007090: D89A6600 00004614
	ds_write_b64 v20, v[74:75] offset:2176                     // 000000007098: D89A0880 00004A14
	ds_write_b64 v20, v[78:79] offset:10880                    // 0000000070A0: D89A2A80 00004E14
	ds_write_b64 v20, v[82:83] offset:19584                    // 0000000070A8: D89A4C80 00005214
	ds_write_b64 v20, v[86:87] offset:28288                    // 0000000070B0: D89A6E80 00005614
	ds_write_b64 v20, v[90:91] offset:4352                     // 0000000070B8: D89A1100 00005A14
	ds_write_b64 v20, v[94:95] offset:13056                    // 0000000070C0: D89A3300 00005E14
	ds_write_b64 v20, v[98:99] offset:21760                    // 0000000070C8: D89A5500 00006214
	ds_write_b64 v20, v[102:103] offset:30464                  // 0000000070D0: D89A7700 00006614
	ds_write_b64 v20, v[106:107] offset:6528                   // 0000000070D8: D89A1980 00006A14
	ds_write_b64 v20, v[110:111] offset:15232                  // 0000000070E0: D89A3B80 00006E14
	ds_write_b64 v20, v[114:115] offset:23936                  // 0000000070E8: D89A5D80 00007214
	ds_write_b64 v20, v[118:119] offset:32640                  // 0000000070F0: D89A7F80 00007614
	s_waitcnt lgkmcnt(0)                                       // 0000000070F8: BF8CC07F
	s_barrier                                                  // 0000000070FC: BF8A0000
	ds_read_b32 v58, v21                                       // 000000007100: D86C0000 3A000015
	ds_read_b32 v59, v21 offset:64                             // 000000007108: D86C0040 3B000015
	ds_read_b32 v62, v21 offset:2176                           // 000000007110: D86C0880 3E000015
	ds_read_b32 v63, v21 offset:2240                           // 000000007118: D86C08C0 3F000015
	ds_read_b32 v66, v21 offset:4352                           // 000000007120: D86C1100 42000015
	ds_read_b32 v67, v21 offset:4416                           // 000000007128: D86C1140 43000015
	ds_read_b32 v70, v21 offset:6528                           // 000000007130: D86C1980 46000015
	ds_read_b32 v71, v21 offset:6592                           // 000000007138: D86C19C0 47000015
	ds_read_b32 v74, v21 offset:8704                           // 000000007140: D86C2200 4A000015
	ds_read_b32 v75, v21 offset:8768                           // 000000007148: D86C2240 4B000015
	ds_read_b32 v78, v21 offset:10880                          // 000000007150: D86C2A80 4E000015
	ds_read_b32 v79, v21 offset:10944                          // 000000007158: D86C2AC0 4F000015
	ds_read_b32 v82, v21 offset:13056                          // 000000007160: D86C3300 52000015
	ds_read_b32 v83, v21 offset:13120                          // 000000007168: D86C3340 53000015
	ds_read_b32 v86, v21 offset:15232                          // 000000007170: D86C3B80 56000015
	ds_read_b32 v87, v21 offset:15296                          // 000000007178: D86C3BC0 57000015
	ds_read_b32 v90, v21 offset:17408                          // 000000007180: D86C4400 5A000015
	ds_read_b32 v91, v21 offset:17472                          // 000000007188: D86C4440 5B000015
	ds_read_b32 v94, v21 offset:19584                          // 000000007190: D86C4C80 5E000015
	ds_read_b32 v95, v21 offset:19648                          // 000000007198: D86C4CC0 5F000015
	ds_read_b32 v98, v21 offset:21760                          // 0000000071A0: D86C5500 62000015
	ds_read_b32 v99, v21 offset:21824                          // 0000000071A8: D86C5540 63000015
	ds_read_b32 v102, v21 offset:23936                         // 0000000071B0: D86C5D80 66000015
	ds_read_b32 v103, v21 offset:24000                         // 0000000071B8: D86C5DC0 67000015
	ds_read_b32 v106, v21 offset:26112                         // 0000000071C0: D86C6600 6A000015
	ds_read_b32 v107, v21 offset:26176                         // 0000000071C8: D86C6640 6B000015
	ds_read_b32 v110, v21 offset:28288                         // 0000000071D0: D86C6E80 6E000015
	ds_read_b32 v111, v21 offset:28352                         // 0000000071D8: D86C6EC0 6F000015
	ds_read_b32 v114, v21 offset:30464                         // 0000000071E0: D86C7700 72000015
	ds_read_b32 v115, v21 offset:30528                         // 0000000071E8: D86C7740 73000015
	ds_read_b32 v118, v21 offset:32640                         // 0000000071F0: D86C7F80 76000015
	ds_read_b32 v119, v21 offset:32704                         // 0000000071F8: D86C7FC0 77000015
	s_waitcnt lgkmcnt(0)                                       // 000000007200: BF8CC07F
	v_mov_b32_e32 v7, 0                                        // 000000007204: 7E0E0280
	s_mov_b64 exec, s[36:37]                                   // 000000007208: BEFE0124
	v_mov_b32_e32 v6, v44                                      // 00000000720C: 7E0C032C
	s_mov_b64 s[60:61], 0                                      // 000000007210: BEBC0180
	v_readlane_b32 s82, v3, 0                                  // 000000007214: D2890052 00010103
	s_and_b32 s82, s82, 0xffffff                               // 00000000721C: 8652FF52 00FFFFFF
	s_cmp_lt_u32 s82, s66                                      // 000000007224: BF0A4252
	s_cselect_b32 s20, s36, s60                                // 000000007228: 85143C24
	v_readlane_b32 s82, v3, 1                                  // 00000000722C: D2890052 00010303
	s_and_b32 s82, s82, 0xffffff                               // 000000007234: 8652FF52 00FFFFFF
	s_cmp_lt_u32 s82, s66                                      // 00000000723C: BF0A4252
	s_cselect_b32 s21, s36, s60                                // 000000007240: 85153C24
	s_mov_b64 exec, s[20:21]                                   // 000000007244: BEFE0114
	global_atomic_add_f32 v6, v58, s[8:9] offset:8             // 000000007248: DD348008 00083A06
	global_atomic_add_f32 v6, v62, s[8:9] offset:264           // 000000007250: DD348108 00083E06
	global_atomic_add_f32 v6, v66, s[8:9] offset:520           // 000000007258: DD348208 00084206
	global_atomic_add_f32 v6, v70, s[8:9] offset:776           // 000000007260: DD348308 00084606
	s_mov_b64 exec, s[36:37]                                   // 000000007268: BEFE0124
	v_mov_b32_e32 v6, v45                                      // 00000000726C: 7E0C032D
	s_mov_b64 s[60:61], 0                                      // 000000007270: BEBC0180
	v_readlane_b32 s82, v3, 2                                  // 000000007274: D2890052 00010503
	s_and_b32 s82, s82, 0xffffff                               // 00000000727C: 8652FF52 00FFFFFF
	s_cmp_lt_u32 s82, s66                                      // 000000007284: BF0A4252
	s_cselect_b32 s20, s36, s60                                // 000000007288: 85143C24
	v_readlane_b32 s82, v3, 3                                  // 00000000728C: D2890052 00010703
	s_and_b32 s82, s82, 0xffffff                               // 000000007294: 8652FF52 00FFFFFF
	s_cmp_lt_u32 s82, s66                                      // 00000000729C: BF0A4252
	s_cselect_b32 s21, s36, s60                                // 0000000072A0: 85153C24
	s_mov_b64 exec, s[20:21]                                   // 0000000072A4: BEFE0114
	global_atomic_add_f32 v6, v59, s[8:9] offset:8             // 0000000072A8: DD348008 00083B06
	global_atomic_add_f32 v6, v63, s[8:9] offset:264           // 0000000072B0: DD348108 00083F06
	global_atomic_add_f32 v6, v67, s[8:9] offset:520           // 0000000072B8: DD348208 00084306
	global_atomic_add_f32 v6, v71, s[8:9] offset:776           // 0000000072C0: DD348308 00084706
	s_mov_b64 exec, s[36:37]                                   // 0000000072C8: BEFE0124
	v_mov_b32_e32 v6, v46                                      // 0000000072CC: 7E0C032E
	s_mov_b64 s[60:61], 0                                      // 0000000072D0: BEBC0180
	v_readlane_b32 s82, v3, 4                                  // 0000000072D4: D2890052 00010903
	s_and_b32 s82, s82, 0xffffff                               // 0000000072DC: 8652FF52 00FFFFFF
	s_cmp_lt_u32 s82, s66                                      // 0000000072E4: BF0A4252
	s_cselect_b32 s20, s36, s60                                // 0000000072E8: 85143C24
	v_readlane_b32 s82, v3, 5                                  // 0000000072EC: D2890052 00010B03
	s_and_b32 s82, s82, 0xffffff                               // 0000000072F4: 8652FF52 00FFFFFF
	s_cmp_lt_u32 s82, s66                                      // 0000000072FC: BF0A4252
	s_cselect_b32 s21, s36, s60                                // 000000007300: 85153C24
	s_mov_b64 exec, s[20:21]                                   // 000000007304: BEFE0114
	global_atomic_add_f32 v6, v74, s[8:9] offset:8             // 000000007308: DD348008 00084A06
	global_atomic_add_f32 v6, v78, s[8:9] offset:264           // 000000007310: DD348108 00084E06
	global_atomic_add_f32 v6, v82, s[8:9] offset:520           // 000000007318: DD348208 00085206
	global_atomic_add_f32 v6, v86, s[8:9] offset:776           // 000000007320: DD348308 00085606
	s_mov_b64 exec, s[36:37]                                   // 000000007328: BEFE0124
	v_mov_b32_e32 v6, v47                                      // 00000000732C: 7E0C032F
	s_mov_b64 s[60:61], 0                                      // 000000007330: BEBC0180
	v_readlane_b32 s82, v3, 6                                  // 000000007334: D2890052 00010D03
	s_and_b32 s82, s82, 0xffffff                               // 00000000733C: 8652FF52 00FFFFFF
	s_cmp_lt_u32 s82, s66                                      // 000000007344: BF0A4252
	s_cselect_b32 s20, s36, s60                                // 000000007348: 85143C24
	v_readlane_b32 s82, v3, 7                                  // 00000000734C: D2890052 00010F03
	s_and_b32 s82, s82, 0xffffff                               // 000000007354: 8652FF52 00FFFFFF
	s_cmp_lt_u32 s82, s66                                      // 00000000735C: BF0A4252
	s_cselect_b32 s21, s36, s60                                // 000000007360: 85153C24
	s_mov_b64 exec, s[20:21]                                   // 000000007364: BEFE0114
	global_atomic_add_f32 v6, v75, s[8:9] offset:8             // 000000007368: DD348008 00084B06
	global_atomic_add_f32 v6, v79, s[8:9] offset:264           // 000000007370: DD348108 00084F06
	global_atomic_add_f32 v6, v83, s[8:9] offset:520           // 000000007378: DD348208 00085306
	global_atomic_add_f32 v6, v87, s[8:9] offset:776           // 000000007380: DD348308 00085706
	s_mov_b64 exec, s[36:37]                                   // 000000007388: BEFE0124
	v_mov_b32_e32 v6, v48                                      // 00000000738C: 7E0C0330
	s_mov_b64 s[60:61], 0                                      // 000000007390: BEBC0180
	v_readlane_b32 s82, v3, 8                                  // 000000007394: D2890052 00011103
	s_and_b32 s82, s82, 0xffffff                               // 00000000739C: 8652FF52 00FFFFFF
	s_cmp_lt_u32 s82, s66                                      // 0000000073A4: BF0A4252
	s_cselect_b32 s20, s36, s60                                // 0000000073A8: 85143C24
	v_readlane_b32 s82, v3, 9                                  // 0000000073AC: D2890052 00011303
	s_and_b32 s82, s82, 0xffffff                               // 0000000073B4: 8652FF52 00FFFFFF
	s_cmp_lt_u32 s82, s66                                      // 0000000073BC: BF0A4252
	s_cselect_b32 s21, s36, s60                                // 0000000073C0: 85153C24
	s_mov_b64 exec, s[20:21]                                   // 0000000073C4: BEFE0114
	global_atomic_add_f32 v6, v90, s[8:9] offset:8             // 0000000073C8: DD348008 00085A06
	global_atomic_add_f32 v6, v94, s[8:9] offset:264           // 0000000073D0: DD348108 00085E06
	global_atomic_add_f32 v6, v98, s[8:9] offset:520           // 0000000073D8: DD348208 00086206
	global_atomic_add_f32 v6, v102, s[8:9] offset:776          // 0000000073E0: DD348308 00086606
	s_mov_b64 exec, s[36:37]                                   // 0000000073E8: BEFE0124
	v_mov_b32_e32 v6, v49                                      // 0000000073EC: 7E0C0331
	s_mov_b64 s[60:61], 0                                      // 0000000073F0: BEBC0180
	v_readlane_b32 s82, v3, 10                                 // 0000000073F4: D2890052 00011503
	s_and_b32 s82, s82, 0xffffff                               // 0000000073FC: 8652FF52 00FFFFFF
	s_cmp_lt_u32 s82, s66                                      // 000000007404: BF0A4252
	s_cselect_b32 s20, s36, s60                                // 000000007408: 85143C24
	v_readlane_b32 s82, v3, 11                                 // 00000000740C: D2890052 00011703
	s_and_b32 s82, s82, 0xffffff                               // 000000007414: 8652FF52 00FFFFFF
	s_cmp_lt_u32 s82, s66                                      // 00000000741C: BF0A4252
	s_cselect_b32 s21, s36, s60                                // 000000007420: 85153C24
	s_mov_b64 exec, s[20:21]                                   // 000000007424: BEFE0114
	global_atomic_add_f32 v6, v91, s[8:9] offset:8             // 000000007428: DD348008 00085B06
	global_atomic_add_f32 v6, v95, s[8:9] offset:264           // 000000007430: DD348108 00085F06
	global_atomic_add_f32 v6, v99, s[8:9] offset:520           // 000000007438: DD348208 00086306
	global_atomic_add_f32 v6, v103, s[8:9] offset:776          // 000000007440: DD348308 00086706
	s_mov_b64 exec, s[36:37]                                   // 000000007448: BEFE0124
	v_mov_b32_e32 v6, v50                                      // 00000000744C: 7E0C0332
	s_mov_b64 s[60:61], 0                                      // 000000007450: BEBC0180
	v_readlane_b32 s82, v3, 12                                 // 000000007454: D2890052 00011903
	s_and_b32 s82, s82, 0xffffff                               // 00000000745C: 8652FF52 00FFFFFF
	s_cmp_lt_u32 s82, s66                                      // 000000007464: BF0A4252
	s_cselect_b32 s20, s36, s60                                // 000000007468: 85143C24
	v_readlane_b32 s82, v3, 13                                 // 00000000746C: D2890052 00011B03
	s_and_b32 s82, s82, 0xffffff                               // 000000007474: 8652FF52 00FFFFFF
	s_cmp_lt_u32 s82, s66                                      // 00000000747C: BF0A4252
	s_cselect_b32 s21, s36, s60                                // 000000007480: 85153C24
	s_mov_b64 exec, s[20:21]                                   // 000000007484: BEFE0114
	global_atomic_add_f32 v6, v106, s[8:9] offset:8            // 000000007488: DD348008 00086A06
	global_atomic_add_f32 v6, v110, s[8:9] offset:264          // 000000007490: DD348108 00086E06
	global_atomic_add_f32 v6, v114, s[8:9] offset:520          // 000000007498: DD348208 00087206
	global_atomic_add_f32 v6, v118, s[8:9] offset:776          // 0000000074A0: DD348308 00087606
	s_mov_b64 exec, s[36:37]                                   // 0000000074A8: BEFE0124
	v_mov_b32_e32 v6, v51                                      // 0000000074AC: 7E0C0333
	s_mov_b64 s[60:61], 0                                      // 0000000074B0: BEBC0180
	v_readlane_b32 s82, v3, 14                                 // 0000000074B4: D2890052 00011D03
	s_and_b32 s82, s82, 0xffffff                               // 0000000074BC: 8652FF52 00FFFFFF
	s_cmp_lt_u32 s82, s66                                      // 0000000074C4: BF0A4252
	s_cselect_b32 s20, s36, s60                                // 0000000074C8: 85143C24
	v_readlane_b32 s82, v3, 15                                 // 0000000074CC: D2890052 00011F03
	s_and_b32 s82, s82, 0xffffff                               // 0000000074D4: 8652FF52 00FFFFFF
	s_cmp_lt_u32 s82, s66                                      // 0000000074DC: BF0A4252
	s_cselect_b32 s21, s36, s60                                // 0000000074E0: 85153C24
	s_mov_b64 exec, s[20:21]                                   // 0000000074E4: BEFE0114
	global_atomic_add_f32 v6, v107, s[8:9] offset:8            // 0000000074E8: DD348008 00086B06
	global_atomic_add_f32 v6, v111, s[8:9] offset:264          // 0000000074F0: DD348108 00086F06
	global_atomic_add_f32 v6, v115, s[8:9] offset:520          // 0000000074F8: DD348208 00087306
	global_atomic_add_f32 v6, v119, s[8:9] offset:776          // 000000007500: DD348308 00087706
	s_mov_b64 exec, s[36:37]                                   // 000000007508: BEFE0124
	ds_write_b64 v20, v[120:121]                               // 00000000750C: D89A0000 00007814
	ds_write_b64 v20, v[124:125] offset:8704                   // 000000007514: D89A2200 00007C14
	ds_write_b64 v20, v[128:129] offset:17408                  // 00000000751C: D89A4400 00008014
	ds_write_b64 v20, v[132:133] offset:26112                  // 000000007524: D89A6600 00008414
	ds_write_b64 v20, v[136:137] offset:2176                   // 00000000752C: D89A0880 00008814
	ds_write_b64 v20, v[140:141] offset:10880                  // 000000007534: D89A2A80 00008C14
	ds_write_b64 v20, v[144:145] offset:19584                  // 00000000753C: D89A4C80 00009014
	ds_write_b64 v20, v[148:149] offset:28288                  // 000000007544: D89A6E80 00009414
	ds_write_b64 v20, v[152:153] offset:4352                   // 00000000754C: D89A1100 00009814
	ds_write_b64 v20, v[156:157] offset:13056                  // 000000007554: D89A3300 00009C14
	ds_write_b64 v20, v[160:161] offset:21760                  // 00000000755C: D89A5500 0000A014
	ds_write_b64 v20, v[164:165] offset:30464                  // 000000007564: D89A7700 0000A414
	ds_write_b64 v20, v[168:169] offset:6528                   // 00000000756C: D89A1980 0000A814
	ds_write_b64 v20, v[172:173] offset:15232                  // 000000007574: D89A3B80 0000AC14
	ds_write_b64 v20, v[176:177] offset:23936                  // 00000000757C: D89A5D80 0000B014
	ds_write_b64 v20, v[180:181] offset:32640                  // 000000007584: D89A7F80 0000B414
	s_waitcnt lgkmcnt(0)                                       // 00000000758C: BF8CC07F
	s_barrier                                                  // 000000007590: BF8A0000
	ds_read_b32 v120, v21                                      // 000000007594: D86C0000 78000015
	ds_read_b32 v121, v21 offset:64                            // 00000000759C: D86C0040 79000015
	ds_read_b32 v124, v21 offset:2176                          // 0000000075A4: D86C0880 7C000015
	ds_read_b32 v125, v21 offset:2240                          // 0000000075AC: D86C08C0 7D000015
	ds_read_b32 v128, v21 offset:4352                          // 0000000075B4: D86C1100 80000015
	ds_read_b32 v129, v21 offset:4416                          // 0000000075BC: D86C1140 81000015
	ds_read_b32 v132, v21 offset:6528                          // 0000000075C4: D86C1980 84000015
	ds_read_b32 v133, v21 offset:6592                          // 0000000075CC: D86C19C0 85000015
	ds_read_b32 v136, v21 offset:8704                          // 0000000075D4: D86C2200 88000015
	ds_read_b32 v137, v21 offset:8768                          // 0000000075DC: D86C2240 89000015
	ds_read_b32 v140, v21 offset:10880                         // 0000000075E4: D86C2A80 8C000015
	ds_read_b32 v141, v21 offset:10944                         // 0000000075EC: D86C2AC0 8D000015
	ds_read_b32 v144, v21 offset:13056                         // 0000000075F4: D86C3300 90000015
	ds_read_b32 v145, v21 offset:13120                         // 0000000075FC: D86C3340 91000015
	ds_read_b32 v148, v21 offset:15232                         // 000000007604: D86C3B80 94000015
	ds_read_b32 v149, v21 offset:15296                         // 00000000760C: D86C3BC0 95000015
	ds_read_b32 v152, v21 offset:17408                         // 000000007614: D86C4400 98000015
	ds_read_b32 v153, v21 offset:17472                         // 00000000761C: D86C4440 99000015
	ds_read_b32 v156, v21 offset:19584                         // 000000007624: D86C4C80 9C000015
	ds_read_b32 v157, v21 offset:19648                         // 00000000762C: D86C4CC0 9D000015
	ds_read_b32 v160, v21 offset:21760                         // 000000007634: D86C5500 A0000015
	ds_read_b32 v161, v21 offset:21824                         // 00000000763C: D86C5540 A1000015
	ds_read_b32 v164, v21 offset:23936                         // 000000007644: D86C5D80 A4000015
	ds_read_b32 v165, v21 offset:24000                         // 00000000764C: D86C5DC0 A5000015
	ds_read_b32 v168, v21 offset:26112                         // 000000007654: D86C6600 A8000015
	ds_read_b32 v169, v21 offset:26176                         // 00000000765C: D86C6640 A9000015
	ds_read_b32 v172, v21 offset:28288                         // 000000007664: D86C6E80 AC000015
	ds_read_b32 v173, v21 offset:28352                         // 00000000766C: D86C6EC0 AD000015
	ds_read_b32 v176, v21 offset:30464                         // 000000007674: D86C7700 B0000015
	ds_read_b32 v177, v21 offset:30528                         // 00000000767C: D86C7740 B1000015
	ds_read_b32 v180, v21 offset:32640                         // 000000007684: D86C7F80 B4000015
	ds_read_b32 v181, v21 offset:32704                         // 00000000768C: D86C7FC0 B5000015
	s_mul_i32 s60, s65, 4                                      // 000000007694: 923C8441
	s_add_u32 s8, s60, s8                                      // 000000007698: 8008083C
	s_addc_u32 s9, 0, s9                                       // 00000000769C: 82090980
	s_waitcnt lgkmcnt(0)                                       // 0000000076A0: BF8CC07F
	v_mov_b32_e32 v7, 0                                        // 0000000076A4: 7E0E0280
	s_mov_b64 exec, s[36:37]                                   // 0000000076A8: BEFE0124
	v_mov_b32_e32 v6, v44                                      // 0000000076AC: 7E0C032C
	s_mov_b64 s[60:61], 0                                      // 0000000076B0: BEBC0180
	v_readlane_b32 s82, v3, 0                                  // 0000000076B4: D2890052 00010103
	s_and_b32 s82, s82, 0xffffff                               // 0000000076BC: 8652FF52 00FFFFFF
	s_cmp_lt_u32 s82, s66                                      // 0000000076C4: BF0A4252
	s_cselect_b32 s20, s36, s60                                // 0000000076C8: 85143C24
	v_readlane_b32 s82, v3, 1                                  // 0000000076CC: D2890052 00010303
	s_and_b32 s82, s82, 0xffffff                               // 0000000076D4: 8652FF52 00FFFFFF
	s_cmp_lt_u32 s82, s66                                      // 0000000076DC: BF0A4252
	s_cselect_b32 s21, s36, s60                                // 0000000076E0: 85153C24
	s_mov_b64 exec, s[20:21]                                   // 0000000076E4: BEFE0114
	global_atomic_add_f32 v6, v120, s[8:9]                     // 0000000076E8: DD348000 00087806
	global_atomic_add_f32 v6, v124, s[8:9] offset:256          // 0000000076F0: DD348100 00087C06
	global_atomic_add_f32 v6, v128, s[8:9] offset:512          // 0000000076F8: DD348200 00088006
	global_atomic_add_f32 v6, v132, s[8:9] offset:768          // 000000007700: DD348300 00088406
	s_mov_b64 exec, s[36:37]                                   // 000000007708: BEFE0124
	v_mov_b32_e32 v6, v45                                      // 00000000770C: 7E0C032D
	s_mov_b64 s[60:61], 0                                      // 000000007710: BEBC0180
	v_readlane_b32 s82, v3, 2                                  // 000000007714: D2890052 00010503
	s_and_b32 s82, s82, 0xffffff                               // 00000000771C: 8652FF52 00FFFFFF
	s_cmp_lt_u32 s82, s66                                      // 000000007724: BF0A4252
	s_cselect_b32 s20, s36, s60                                // 000000007728: 85143C24
	v_readlane_b32 s82, v3, 3                                  // 00000000772C: D2890052 00010703
	s_and_b32 s82, s82, 0xffffff                               // 000000007734: 8652FF52 00FFFFFF
	s_cmp_lt_u32 s82, s66                                      // 00000000773C: BF0A4252
	s_cselect_b32 s21, s36, s60                                // 000000007740: 85153C24
	s_mov_b64 exec, s[20:21]                                   // 000000007744: BEFE0114
	global_atomic_add_f32 v6, v121, s[8:9]                     // 000000007748: DD348000 00087906
	global_atomic_add_f32 v6, v125, s[8:9] offset:256          // 000000007750: DD348100 00087D06
	global_atomic_add_f32 v6, v129, s[8:9] offset:512          // 000000007758: DD348200 00088106
	global_atomic_add_f32 v6, v133, s[8:9] offset:768          // 000000007760: DD348300 00088506
	s_mov_b64 exec, s[36:37]                                   // 000000007768: BEFE0124
	v_mov_b32_e32 v6, v46                                      // 00000000776C: 7E0C032E
	s_mov_b64 s[60:61], 0                                      // 000000007770: BEBC0180
	v_readlane_b32 s82, v3, 4                                  // 000000007774: D2890052 00010903
	s_and_b32 s82, s82, 0xffffff                               // 00000000777C: 8652FF52 00FFFFFF
	s_cmp_lt_u32 s82, s66                                      // 000000007784: BF0A4252
	s_cselect_b32 s20, s36, s60                                // 000000007788: 85143C24
	v_readlane_b32 s82, v3, 5                                  // 00000000778C: D2890052 00010B03
	s_and_b32 s82, s82, 0xffffff                               // 000000007794: 8652FF52 00FFFFFF
	s_cmp_lt_u32 s82, s66                                      // 00000000779C: BF0A4252
	s_cselect_b32 s21, s36, s60                                // 0000000077A0: 85153C24
	s_mov_b64 exec, s[20:21]                                   // 0000000077A4: BEFE0114
	global_atomic_add_f32 v6, v136, s[8:9]                     // 0000000077A8: DD348000 00088806
	global_atomic_add_f32 v6, v140, s[8:9] offset:256          // 0000000077B0: DD348100 00088C06
	global_atomic_add_f32 v6, v144, s[8:9] offset:512          // 0000000077B8: DD348200 00089006
	global_atomic_add_f32 v6, v148, s[8:9] offset:768          // 0000000077C0: DD348300 00089406
	s_mov_b64 exec, s[36:37]                                   // 0000000077C8: BEFE0124
	v_mov_b32_e32 v6, v47                                      // 0000000077CC: 7E0C032F
	s_mov_b64 s[60:61], 0                                      // 0000000077D0: BEBC0180
	v_readlane_b32 s82, v3, 6                                  // 0000000077D4: D2890052 00010D03
	s_and_b32 s82, s82, 0xffffff                               // 0000000077DC: 8652FF52 00FFFFFF
	s_cmp_lt_u32 s82, s66                                      // 0000000077E4: BF0A4252
	s_cselect_b32 s20, s36, s60                                // 0000000077E8: 85143C24
	v_readlane_b32 s82, v3, 7                                  // 0000000077EC: D2890052 00010F03
	s_and_b32 s82, s82, 0xffffff                               // 0000000077F4: 8652FF52 00FFFFFF
	s_cmp_lt_u32 s82, s66                                      // 0000000077FC: BF0A4252
	s_cselect_b32 s21, s36, s60                                // 000000007800: 85153C24
	s_mov_b64 exec, s[20:21]                                   // 000000007804: BEFE0114
	global_atomic_add_f32 v6, v137, s[8:9]                     // 000000007808: DD348000 00088906
	global_atomic_add_f32 v6, v141, s[8:9] offset:256          // 000000007810: DD348100 00088D06
	global_atomic_add_f32 v6, v145, s[8:9] offset:512          // 000000007818: DD348200 00089106
	global_atomic_add_f32 v6, v149, s[8:9] offset:768          // 000000007820: DD348300 00089506
	s_mov_b64 exec, s[36:37]                                   // 000000007828: BEFE0124
	v_mov_b32_e32 v6, v48                                      // 00000000782C: 7E0C0330
	s_mov_b64 s[60:61], 0                                      // 000000007830: BEBC0180
	v_readlane_b32 s82, v3, 8                                  // 000000007834: D2890052 00011103
	s_and_b32 s82, s82, 0xffffff                               // 00000000783C: 8652FF52 00FFFFFF
	s_cmp_lt_u32 s82, s66                                      // 000000007844: BF0A4252
	s_cselect_b32 s20, s36, s60                                // 000000007848: 85143C24
	v_readlane_b32 s82, v3, 9                                  // 00000000784C: D2890052 00011303
	s_and_b32 s82, s82, 0xffffff                               // 000000007854: 8652FF52 00FFFFFF
	s_cmp_lt_u32 s82, s66                                      // 00000000785C: BF0A4252
	s_cselect_b32 s21, s36, s60                                // 000000007860: 85153C24
	s_mov_b64 exec, s[20:21]                                   // 000000007864: BEFE0114
	global_atomic_add_f32 v6, v152, s[8:9]                     // 000000007868: DD348000 00089806
	global_atomic_add_f32 v6, v156, s[8:9] offset:256          // 000000007870: DD348100 00089C06
	global_atomic_add_f32 v6, v160, s[8:9] offset:512          // 000000007878: DD348200 0008A006
	global_atomic_add_f32 v6, v164, s[8:9] offset:768          // 000000007880: DD348300 0008A406
	s_mov_b64 exec, s[36:37]                                   // 000000007888: BEFE0124
	v_mov_b32_e32 v6, v49                                      // 00000000788C: 7E0C0331
	s_mov_b64 s[60:61], 0                                      // 000000007890: BEBC0180
	v_readlane_b32 s82, v3, 10                                 // 000000007894: D2890052 00011503
	s_and_b32 s82, s82, 0xffffff                               // 00000000789C: 8652FF52 00FFFFFF
	s_cmp_lt_u32 s82, s66                                      // 0000000078A4: BF0A4252
	s_cselect_b32 s20, s36, s60                                // 0000000078A8: 85143C24
	v_readlane_b32 s82, v3, 11                                 // 0000000078AC: D2890052 00011703
	s_and_b32 s82, s82, 0xffffff                               // 0000000078B4: 8652FF52 00FFFFFF
	s_cmp_lt_u32 s82, s66                                      // 0000000078BC: BF0A4252
	s_cselect_b32 s21, s36, s60                                // 0000000078C0: 85153C24
	s_mov_b64 exec, s[20:21]                                   // 0000000078C4: BEFE0114
	global_atomic_add_f32 v6, v153, s[8:9]                     // 0000000078C8: DD348000 00089906
	global_atomic_add_f32 v6, v157, s[8:9] offset:256          // 0000000078D0: DD348100 00089D06
	global_atomic_add_f32 v6, v161, s[8:9] offset:512          // 0000000078D8: DD348200 0008A106
	global_atomic_add_f32 v6, v165, s[8:9] offset:768          // 0000000078E0: DD348300 0008A506
	s_mov_b64 exec, s[36:37]                                   // 0000000078E8: BEFE0124
	v_mov_b32_e32 v6, v50                                      // 0000000078EC: 7E0C0332
	s_mov_b64 s[60:61], 0                                      // 0000000078F0: BEBC0180
	v_readlane_b32 s82, v3, 12                                 // 0000000078F4: D2890052 00011903
	s_and_b32 s82, s82, 0xffffff                               // 0000000078FC: 8652FF52 00FFFFFF
	s_cmp_lt_u32 s82, s66                                      // 000000007904: BF0A4252
	s_cselect_b32 s20, s36, s60                                // 000000007908: 85143C24
	v_readlane_b32 s82, v3, 13                                 // 00000000790C: D2890052 00011B03
	s_and_b32 s82, s82, 0xffffff                               // 000000007914: 8652FF52 00FFFFFF
	s_cmp_lt_u32 s82, s66                                      // 00000000791C: BF0A4252
	s_cselect_b32 s21, s36, s60                                // 000000007920: 85153C24
	s_mov_b64 exec, s[20:21]                                   // 000000007924: BEFE0114
	global_atomic_add_f32 v6, v168, s[8:9]                     // 000000007928: DD348000 0008A806
	global_atomic_add_f32 v6, v172, s[8:9] offset:256          // 000000007930: DD348100 0008AC06
	global_atomic_add_f32 v6, v176, s[8:9] offset:512          // 000000007938: DD348200 0008B006
	global_atomic_add_f32 v6, v180, s[8:9] offset:768          // 000000007940: DD348300 0008B406
	s_mov_b64 exec, s[36:37]                                   // 000000007948: BEFE0124
	v_mov_b32_e32 v6, v51                                      // 00000000794C: 7E0C0333
	s_mov_b64 s[60:61], 0                                      // 000000007950: BEBC0180
	v_readlane_b32 s82, v3, 14                                 // 000000007954: D2890052 00011D03
	s_and_b32 s82, s82, 0xffffff                               // 00000000795C: 8652FF52 00FFFFFF
	s_cmp_lt_u32 s82, s66                                      // 000000007964: BF0A4252
	s_cselect_b32 s20, s36, s60                                // 000000007968: 85143C24
	v_readlane_b32 s82, v3, 15                                 // 00000000796C: D2890052 00011F03
	s_and_b32 s82, s82, 0xffffff                               // 000000007974: 8652FF52 00FFFFFF
	s_cmp_lt_u32 s82, s66                                      // 00000000797C: BF0A4252
	s_cselect_b32 s21, s36, s60                                // 000000007980: 85153C24
	s_mov_b64 exec, s[20:21]                                   // 000000007984: BEFE0114
	global_atomic_add_f32 v6, v169, s[8:9]                     // 000000007988: DD348000 0008A906
	global_atomic_add_f32 v6, v173, s[8:9] offset:256          // 000000007990: DD348100 0008AD06
	global_atomic_add_f32 v6, v177, s[8:9] offset:512          // 000000007998: DD348200 0008B106
	global_atomic_add_f32 v6, v181, s[8:9] offset:768          // 0000000079A0: DD348300 0008B506
	s_mov_b64 exec, s[36:37]                                   // 0000000079A8: BEFE0124
	ds_write_b64 v20, v[122:123]                               // 0000000079AC: D89A0000 00007A14
	ds_write_b64 v20, v[126:127] offset:8704                   // 0000000079B4: D89A2200 00007E14
	ds_write_b64 v20, v[130:131] offset:17408                  // 0000000079BC: D89A4400 00008214
	ds_write_b64 v20, v[134:135] offset:26112                  // 0000000079C4: D89A6600 00008614
	ds_write_b64 v20, v[138:139] offset:2176                   // 0000000079CC: D89A0880 00008A14
	ds_write_b64 v20, v[142:143] offset:10880                  // 0000000079D4: D89A2A80 00008E14
	ds_write_b64 v20, v[146:147] offset:19584                  // 0000000079DC: D89A4C80 00009214
	ds_write_b64 v20, v[150:151] offset:28288                  // 0000000079E4: D89A6E80 00009614
	ds_write_b64 v20, v[154:155] offset:4352                   // 0000000079EC: D89A1100 00009A14
	ds_write_b64 v20, v[158:159] offset:13056                  // 0000000079F4: D89A3300 00009E14
	ds_write_b64 v20, v[162:163] offset:21760                  // 0000000079FC: D89A5500 0000A214
	ds_write_b64 v20, v[166:167] offset:30464                  // 000000007A04: D89A7700 0000A614
	ds_write_b64 v20, v[170:171] offset:6528                   // 000000007A0C: D89A1980 0000AA14
	ds_write_b64 v20, v[174:175] offset:15232                  // 000000007A14: D89A3B80 0000AE14
	ds_write_b64 v20, v[178:179] offset:23936                  // 000000007A1C: D89A5D80 0000B214
	ds_write_b64 v20, v[182:183] offset:32640                  // 000000007A24: D89A7F80 0000B614
	s_waitcnt lgkmcnt(0)                                       // 000000007A2C: BF8CC07F
	s_barrier                                                  // 000000007A30: BF8A0000
	ds_read_b32 v122, v21                                      // 000000007A34: D86C0000 7A000015
	ds_read_b32 v123, v21 offset:64                            // 000000007A3C: D86C0040 7B000015
	ds_read_b32 v126, v21 offset:2176                          // 000000007A44: D86C0880 7E000015
	ds_read_b32 v127, v21 offset:2240                          // 000000007A4C: D86C08C0 7F000015
	ds_read_b32 v130, v21 offset:4352                          // 000000007A54: D86C1100 82000015
	ds_read_b32 v131, v21 offset:4416                          // 000000007A5C: D86C1140 83000015
	ds_read_b32 v134, v21 offset:6528                          // 000000007A64: D86C1980 86000015
	ds_read_b32 v135, v21 offset:6592                          // 000000007A6C: D86C19C0 87000015
	ds_read_b32 v138, v21 offset:8704                          // 000000007A74: D86C2200 8A000015
	ds_read_b32 v139, v21 offset:8768                          // 000000007A7C: D86C2240 8B000015
	ds_read_b32 v142, v21 offset:10880                         // 000000007A84: D86C2A80 8E000015
	ds_read_b32 v143, v21 offset:10944                         // 000000007A8C: D86C2AC0 8F000015
	ds_read_b32 v146, v21 offset:13056                         // 000000007A94: D86C3300 92000015
	ds_read_b32 v147, v21 offset:13120                         // 000000007A9C: D86C3340 93000015
	ds_read_b32 v150, v21 offset:15232                         // 000000007AA4: D86C3B80 96000015
	ds_read_b32 v151, v21 offset:15296                         // 000000007AAC: D86C3BC0 97000015
	ds_read_b32 v154, v21 offset:17408                         // 000000007AB4: D86C4400 9A000015
	ds_read_b32 v155, v21 offset:17472                         // 000000007ABC: D86C4440 9B000015
	ds_read_b32 v158, v21 offset:19584                         // 000000007AC4: D86C4C80 9E000015
	ds_read_b32 v159, v21 offset:19648                         // 000000007ACC: D86C4CC0 9F000015
	ds_read_b32 v162, v21 offset:21760                         // 000000007AD4: D86C5500 A2000015
	ds_read_b32 v163, v21 offset:21824                         // 000000007ADC: D86C5540 A3000015
	ds_read_b32 v166, v21 offset:23936                         // 000000007AE4: D86C5D80 A6000015
	ds_read_b32 v167, v21 offset:24000                         // 000000007AEC: D86C5DC0 A7000015
	ds_read_b32 v170, v21 offset:26112                         // 000000007AF4: D86C6600 AA000015
	ds_read_b32 v171, v21 offset:26176                         // 000000007AFC: D86C6640 AB000015
	ds_read_b32 v174, v21 offset:28288                         // 000000007B04: D86C6E80 AE000015
	ds_read_b32 v175, v21 offset:28352                         // 000000007B0C: D86C6EC0 AF000015
	ds_read_b32 v178, v21 offset:30464                         // 000000007B14: D86C7700 B2000015
	ds_read_b32 v179, v21 offset:30528                         // 000000007B1C: D86C7740 B3000015
	ds_read_b32 v182, v21 offset:32640                         // 000000007B24: D86C7F80 B6000015
	ds_read_b32 v183, v21 offset:32704                         // 000000007B2C: D86C7FC0 B7000015
	s_waitcnt lgkmcnt(0)                                       // 000000007B34: BF8CC07F
	v_mov_b32_e32 v7, 0                                        // 000000007B38: 7E0E0280
	s_mov_b64 exec, s[36:37]                                   // 000000007B3C: BEFE0124
	v_mov_b32_e32 v6, v44                                      // 000000007B40: 7E0C032C
	s_mov_b64 s[60:61], 0                                      // 000000007B44: BEBC0180
	v_readlane_b32 s82, v3, 0                                  // 000000007B48: D2890052 00010103
	s_and_b32 s82, s82, 0xffffff                               // 000000007B50: 8652FF52 00FFFFFF
	s_cmp_lt_u32 s82, s66                                      // 000000007B58: BF0A4252
	s_cselect_b32 s20, s36, s60                                // 000000007B5C: 85143C24
	v_readlane_b32 s82, v3, 1                                  // 000000007B60: D2890052 00010303
	s_and_b32 s82, s82, 0xffffff                               // 000000007B68: 8652FF52 00FFFFFF
	s_cmp_lt_u32 s82, s66                                      // 000000007B70: BF0A4252
	s_cselect_b32 s21, s36, s60                                // 000000007B74: 85153C24
	s_mov_b64 exec, s[20:21]                                   // 000000007B78: BEFE0114
	global_atomic_add_f32 v6, v122, s[8:9] offset:8            // 000000007B7C: DD348008 00087A06
	global_atomic_add_f32 v6, v126, s[8:9] offset:264          // 000000007B84: DD348108 00087E06
	global_atomic_add_f32 v6, v130, s[8:9] offset:520          // 000000007B8C: DD348208 00088206
	global_atomic_add_f32 v6, v134, s[8:9] offset:776          // 000000007B94: DD348308 00088606
	s_mov_b64 exec, s[36:37]                                   // 000000007B9C: BEFE0124
	v_mov_b32_e32 v6, v45                                      // 000000007BA0: 7E0C032D
	s_mov_b64 s[60:61], 0                                      // 000000007BA4: BEBC0180
	v_readlane_b32 s82, v3, 2                                  // 000000007BA8: D2890052 00010503
	s_and_b32 s82, s82, 0xffffff                               // 000000007BB0: 8652FF52 00FFFFFF
	s_cmp_lt_u32 s82, s66                                      // 000000007BB8: BF0A4252
	s_cselect_b32 s20, s36, s60                                // 000000007BBC: 85143C24
	v_readlane_b32 s82, v3, 3                                  // 000000007BC0: D2890052 00010703
	s_and_b32 s82, s82, 0xffffff                               // 000000007BC8: 8652FF52 00FFFFFF
	s_cmp_lt_u32 s82, s66                                      // 000000007BD0: BF0A4252
	s_cselect_b32 s21, s36, s60                                // 000000007BD4: 85153C24
	s_mov_b64 exec, s[20:21]                                   // 000000007BD8: BEFE0114
	global_atomic_add_f32 v6, v123, s[8:9] offset:8            // 000000007BDC: DD348008 00087B06
	global_atomic_add_f32 v6, v127, s[8:9] offset:264          // 000000007BE4: DD348108 00087F06
	global_atomic_add_f32 v6, v131, s[8:9] offset:520          // 000000007BEC: DD348208 00088306
	global_atomic_add_f32 v6, v135, s[8:9] offset:776          // 000000007BF4: DD348308 00088706
	s_mov_b64 exec, s[36:37]                                   // 000000007BFC: BEFE0124
	v_mov_b32_e32 v6, v46                                      // 000000007C00: 7E0C032E
	s_mov_b64 s[60:61], 0                                      // 000000007C04: BEBC0180
	v_readlane_b32 s82, v3, 4                                  // 000000007C08: D2890052 00010903
	s_and_b32 s82, s82, 0xffffff                               // 000000007C10: 8652FF52 00FFFFFF
	s_cmp_lt_u32 s82, s66                                      // 000000007C18: BF0A4252
	s_cselect_b32 s20, s36, s60                                // 000000007C1C: 85143C24
	v_readlane_b32 s82, v3, 5                                  // 000000007C20: D2890052 00010B03
	s_and_b32 s82, s82, 0xffffff                               // 000000007C28: 8652FF52 00FFFFFF
	s_cmp_lt_u32 s82, s66                                      // 000000007C30: BF0A4252
	s_cselect_b32 s21, s36, s60                                // 000000007C34: 85153C24
	s_mov_b64 exec, s[20:21]                                   // 000000007C38: BEFE0114
	global_atomic_add_f32 v6, v138, s[8:9] offset:8            // 000000007C3C: DD348008 00088A06
	global_atomic_add_f32 v6, v142, s[8:9] offset:264          // 000000007C44: DD348108 00088E06
	global_atomic_add_f32 v6, v146, s[8:9] offset:520          // 000000007C4C: DD348208 00089206
	global_atomic_add_f32 v6, v150, s[8:9] offset:776          // 000000007C54: DD348308 00089606
	s_mov_b64 exec, s[36:37]                                   // 000000007C5C: BEFE0124
	v_mov_b32_e32 v6, v47                                      // 000000007C60: 7E0C032F
	s_mov_b64 s[60:61], 0                                      // 000000007C64: BEBC0180
	v_readlane_b32 s82, v3, 6                                  // 000000007C68: D2890052 00010D03
	s_and_b32 s82, s82, 0xffffff                               // 000000007C70: 8652FF52 00FFFFFF
	s_cmp_lt_u32 s82, s66                                      // 000000007C78: BF0A4252
	s_cselect_b32 s20, s36, s60                                // 000000007C7C: 85143C24
	v_readlane_b32 s82, v3, 7                                  // 000000007C80: D2890052 00010F03
	s_and_b32 s82, s82, 0xffffff                               // 000000007C88: 8652FF52 00FFFFFF
	s_cmp_lt_u32 s82, s66                                      // 000000007C90: BF0A4252
	s_cselect_b32 s21, s36, s60                                // 000000007C94: 85153C24
	s_mov_b64 exec, s[20:21]                                   // 000000007C98: BEFE0114
	global_atomic_add_f32 v6, v139, s[8:9] offset:8            // 000000007C9C: DD348008 00088B06
	global_atomic_add_f32 v6, v143, s[8:9] offset:264          // 000000007CA4: DD348108 00088F06
	global_atomic_add_f32 v6, v147, s[8:9] offset:520          // 000000007CAC: DD348208 00089306
	global_atomic_add_f32 v6, v151, s[8:9] offset:776          // 000000007CB4: DD348308 00089706
	s_mov_b64 exec, s[36:37]                                   // 000000007CBC: BEFE0124
	v_mov_b32_e32 v6, v48                                      // 000000007CC0: 7E0C0330
	s_mov_b64 s[60:61], 0                                      // 000000007CC4: BEBC0180
	v_readlane_b32 s82, v3, 8                                  // 000000007CC8: D2890052 00011103
	s_and_b32 s82, s82, 0xffffff                               // 000000007CD0: 8652FF52 00FFFFFF
	s_cmp_lt_u32 s82, s66                                      // 000000007CD8: BF0A4252
	s_cselect_b32 s20, s36, s60                                // 000000007CDC: 85143C24
	v_readlane_b32 s82, v3, 9                                  // 000000007CE0: D2890052 00011303
	s_and_b32 s82, s82, 0xffffff                               // 000000007CE8: 8652FF52 00FFFFFF
	s_cmp_lt_u32 s82, s66                                      // 000000007CF0: BF0A4252
	s_cselect_b32 s21, s36, s60                                // 000000007CF4: 85153C24
	s_mov_b64 exec, s[20:21]                                   // 000000007CF8: BEFE0114
	global_atomic_add_f32 v6, v154, s[8:9] offset:8            // 000000007CFC: DD348008 00089A06
	global_atomic_add_f32 v6, v158, s[8:9] offset:264          // 000000007D04: DD348108 00089E06
	global_atomic_add_f32 v6, v162, s[8:9] offset:520          // 000000007D0C: DD348208 0008A206
	global_atomic_add_f32 v6, v166, s[8:9] offset:776          // 000000007D14: DD348308 0008A606
	s_mov_b64 exec, s[36:37]                                   // 000000007D1C: BEFE0124
	v_mov_b32_e32 v6, v49                                      // 000000007D20: 7E0C0331
	s_mov_b64 s[60:61], 0                                      // 000000007D24: BEBC0180
	v_readlane_b32 s82, v3, 10                                 // 000000007D28: D2890052 00011503
	s_and_b32 s82, s82, 0xffffff                               // 000000007D30: 8652FF52 00FFFFFF
	s_cmp_lt_u32 s82, s66                                      // 000000007D38: BF0A4252
	s_cselect_b32 s20, s36, s60                                // 000000007D3C: 85143C24
	v_readlane_b32 s82, v3, 11                                 // 000000007D40: D2890052 00011703
	s_and_b32 s82, s82, 0xffffff                               // 000000007D48: 8652FF52 00FFFFFF
	s_cmp_lt_u32 s82, s66                                      // 000000007D50: BF0A4252
	s_cselect_b32 s21, s36, s60                                // 000000007D54: 85153C24
	s_mov_b64 exec, s[20:21]                                   // 000000007D58: BEFE0114
	global_atomic_add_f32 v6, v155, s[8:9] offset:8            // 000000007D5C: DD348008 00089B06
	global_atomic_add_f32 v6, v159, s[8:9] offset:264          // 000000007D64: DD348108 00089F06
	global_atomic_add_f32 v6, v163, s[8:9] offset:520          // 000000007D6C: DD348208 0008A306
	global_atomic_add_f32 v6, v167, s[8:9] offset:776          // 000000007D74: DD348308 0008A706
	s_mov_b64 exec, s[36:37]                                   // 000000007D7C: BEFE0124
	v_mov_b32_e32 v6, v50                                      // 000000007D80: 7E0C0332
	s_mov_b64 s[60:61], 0                                      // 000000007D84: BEBC0180
	v_readlane_b32 s82, v3, 12                                 // 000000007D88: D2890052 00011903
	s_and_b32 s82, s82, 0xffffff                               // 000000007D90: 8652FF52 00FFFFFF
	s_cmp_lt_u32 s82, s66                                      // 000000007D98: BF0A4252
	s_cselect_b32 s20, s36, s60                                // 000000007D9C: 85143C24
	v_readlane_b32 s82, v3, 13                                 // 000000007DA0: D2890052 00011B03
	s_and_b32 s82, s82, 0xffffff                               // 000000007DA8: 8652FF52 00FFFFFF
	s_cmp_lt_u32 s82, s66                                      // 000000007DB0: BF0A4252
	s_cselect_b32 s21, s36, s60                                // 000000007DB4: 85153C24
	s_mov_b64 exec, s[20:21]                                   // 000000007DB8: BEFE0114
	global_atomic_add_f32 v6, v170, s[8:9] offset:8            // 000000007DBC: DD348008 0008AA06
	global_atomic_add_f32 v6, v174, s[8:9] offset:264          // 000000007DC4: DD348108 0008AE06
	global_atomic_add_f32 v6, v178, s[8:9] offset:520          // 000000007DCC: DD348208 0008B206
	global_atomic_add_f32 v6, v182, s[8:9] offset:776          // 000000007DD4: DD348308 0008B606
	s_mov_b64 exec, s[36:37]                                   // 000000007DDC: BEFE0124
	v_mov_b32_e32 v6, v51                                      // 000000007DE0: 7E0C0333
	s_mov_b64 s[60:61], 0                                      // 000000007DE4: BEBC0180
	v_readlane_b32 s82, v3, 14                                 // 000000007DE8: D2890052 00011D03
	s_and_b32 s82, s82, 0xffffff                               // 000000007DF0: 8652FF52 00FFFFFF
	s_cmp_lt_u32 s82, s66                                      // 000000007DF8: BF0A4252
	s_cselect_b32 s20, s36, s60                                // 000000007DFC: 85143C24
	v_readlane_b32 s82, v3, 15                                 // 000000007E00: D2890052 00011F03
	s_and_b32 s82, s82, 0xffffff                               // 000000007E08: 8652FF52 00FFFFFF
	s_cmp_lt_u32 s82, s66                                      // 000000007E10: BF0A4252
	s_cselect_b32 s21, s36, s60                                // 000000007E14: 85153C24
	s_mov_b64 exec, s[20:21]                                   // 000000007E18: BEFE0114
	global_atomic_add_f32 v6, v171, s[8:9] offset:8            // 000000007E1C: DD348008 0008AB06
	global_atomic_add_f32 v6, v175, s[8:9] offset:264          // 000000007E24: DD348108 0008AF06
	global_atomic_add_f32 v6, v179, s[8:9] offset:520          // 000000007E2C: DD348208 0008B306
	global_atomic_add_f32 v6, v183, s[8:9] offset:776          // 000000007E34: DD348308 0008B706
	s_mov_b64 exec, s[36:37]                                   // 000000007E3C: BEFE0124
	s_branch label_277E                                        // 000000007E40: BF82126A

0000000000007e44 <label_1514>:
	s_waitcnt vmcnt(6) lgkmcnt(0)                              // 000000007E44: BF8C0076
	s_barrier                                                  // 000000007E48: BF8A0000
	v_mfma_i32_16x16x32_i8 v[56:59], a[64:65], a[0:1], v[56:59]// 000000007E4C: D3D70038 1CE20140
	buffer_load_dwordx4 a[96:99], v52, s[84:87], 0 offen       // 000000007E54: E05C1000 80956034
	v_mfma_i32_16x16x32_i8 v[56:59], a[66:67], a[2:3], v[56:59]// 000000007E5C: D3D70038 1CE20542
	v_mfma_i32_16x16x32_i8 v[56:59], a[68:69], a[4:5], v[56:59]// 000000007E64: D3D70038 1CE20944
	v_mfma_i32_16x16x32_i8 v[56:59], a[70:71], a[6:7], v[56:59]// 000000007E6C: D3D70038 1CE20D46
	v_mfma_i32_16x16x32_i8 v[60:63], a[64:65], a[8:9], v[60:63]// 000000007E74: D3D7003C 1CF21140
	buffer_load_dwordx4 a[100:103], v52, s[84:87], 0 offen offset:1024// 000000007E7C: E05C1400 80956434
	v_mfma_i32_16x16x32_i8 v[60:63], a[66:67], a[10:11], v[60:63]// 000000007E84: D3D7003C 1CF21542
	v_mfma_i32_16x16x32_i8 v[60:63], a[68:69], a[12:13], v[60:63]// 000000007E8C: D3D7003C 1CF21944
	v_mfma_i32_16x16x32_i8 v[60:63], a[70:71], a[14:15], v[60:63]// 000000007E94: D3D7003C 1CF21D46
	v_mfma_i32_16x16x32_i8 v[64:67], a[64:65], a[16:17], v[64:67]// 000000007E9C: D3D70040 1D022140
	buffer_load_dwordx4 a[104:107], v53, s[84:87], 0 offen     // 000000007EA4: E05C1000 80956835
	v_mfma_i32_16x16x32_i8 v[64:67], a[66:67], a[18:19], v[64:67]// 000000007EAC: D3D70040 1D022542
	v_mfma_i32_16x16x32_i8 v[64:67], a[68:69], a[20:21], v[64:67]// 000000007EB4: D3D70040 1D022944
	v_mfma_i32_16x16x32_i8 v[64:67], a[70:71], a[22:23], v[64:67]// 000000007EBC: D3D70040 1D022D46
	v_mfma_i32_16x16x32_i8 v[68:71], a[64:65], a[24:25], v[68:71]// 000000007EC4: D3D70044 1D123140
	buffer_load_dwordx4 a[108:111], v53, s[84:87], 0 offen offset:1024// 000000007ECC: E05C1400 80956C35
	v_mfma_i32_16x16x32_i8 v[68:71], a[66:67], a[26:27], v[68:71]// 000000007ED4: D3D70044 1D123542
	v_mfma_i32_16x16x32_i8 v[68:71], a[68:69], a[28:29], v[68:71]// 000000007EDC: D3D70044 1D123944
	v_mfma_i32_16x16x32_i8 v[68:71], a[70:71], a[30:31], v[68:71]// 000000007EE4: D3D70044 1D123D46
	s_waitcnt vmcnt(8)                                         // 000000007EEC: BF8C0F78
	v_mfma_i32_16x16x32_i8 v[72:75], a[72:73], a[0:1], v[72:75]// 000000007EF0: D3D70048 1D220148
	buffer_load_dwordx4 a[112:115], v54, s[84:87], 0 offen     // 000000007EF8: E05C1000 80957036
	v_mfma_i32_16x16x32_i8 v[72:75], a[74:75], a[2:3], v[72:75]// 000000007F00: D3D70048 1D22054A
	v_mfma_i32_16x16x32_i8 v[72:75], a[76:77], a[4:5], v[72:75]// 000000007F08: D3D70048 1D22094C
	v_mfma_i32_16x16x32_i8 v[72:75], a[78:79], a[6:7], v[72:75]// 000000007F10: D3D70048 1D220D4E
	v_mfma_i32_16x16x32_i8 v[76:79], a[72:73], a[8:9], v[76:79]// 000000007F18: D3D7004C 1D321148
	buffer_load_dwordx4 a[116:119], v54, s[84:87], 0 offen offset:1024// 000000007F20: E05C1400 80957436
	v_mfma_i32_16x16x32_i8 v[76:79], a[74:75], a[10:11], v[76:79]// 000000007F28: D3D7004C 1D32154A
	v_mfma_i32_16x16x32_i8 v[76:79], a[76:77], a[12:13], v[76:79]// 000000007F30: D3D7004C 1D32194C
	v_mfma_i32_16x16x32_i8 v[76:79], a[78:79], a[14:15], v[76:79]// 000000007F38: D3D7004C 1D321D4E
	v_mfma_i32_16x16x32_i8 v[80:83], a[72:73], a[16:17], v[80:83]// 000000007F40: D3D70050 1D422148
	buffer_load_dwordx4 a[120:123], v55, s[84:87], 0 offen     // 000000007F48: E05C1000 80957837
	v_mfma_i32_16x16x32_i8 v[80:83], a[74:75], a[18:19], v[80:83]// 000000007F50: D3D70050 1D42254A
	v_mfma_i32_16x16x32_i8 v[80:83], a[76:77], a[20:21], v[80:83]// 000000007F58: D3D70050 1D42294C
	v_mfma_i32_16x16x32_i8 v[80:83], a[78:79], a[22:23], v[80:83]// 000000007F60: D3D70050 1D422D4E
	v_mfma_i32_16x16x32_i8 v[84:87], a[72:73], a[24:25], v[84:87]// 000000007F68: D3D70054 1D523148
	buffer_load_dwordx4 a[124:127], v55, s[84:87], 0 offen offset:1024// 000000007F70: E05C1400 80957C37
	buffer_load_dword v44, s[20:23], 0 offen lds               // 000000007F78: E0511000 8005002C
	s_add_u32 m0, 0x100, s48                                   // 000000007F80: 807C30FF 00000100
	v_mfma_i32_16x16x32_i8 v[84:87], a[74:75], a[26:27], v[84:87]// 000000007F88: D3D70054 1D52354A
	v_mfma_i32_16x16x32_i8 v[84:87], a[76:77], a[28:29], v[84:87]// 000000007F90: D3D70054 1D52394C
	buffer_load_dword v45, s[20:23], 0 offen lds               // 000000007F98: E0511000 8005002D
	s_add_u32 m0, 0x200, s48                                   // 000000007FA0: 807C30FF 00000200
	v_mfma_i32_16x16x32_i8 v[84:87], a[78:79], a[30:31], v[84:87]// 000000007FA8: D3D70054 1D523D4E
	s_waitcnt vmcnt(12)                                        // 000000007FB0: BF8C0F7C
	v_mfma_i32_16x16x32_i8 v[88:91], a[80:81], a[0:1], v[88:91]// 000000007FB4: D3D70058 1D620150
	buffer_load_dword v46, s[20:23], 0 offen lds               // 000000007FBC: E0511000 8005002E
	s_add_u32 m0, 0x300, s48                                   // 000000007FC4: 807C30FF 00000300
	v_mfma_i32_16x16x32_i8 v[88:91], a[82:83], a[2:3], v[88:91]// 000000007FCC: D3D70058 1D620552
	v_mfma_i32_16x16x32_i8 v[88:91], a[84:85], a[4:5], v[88:91]// 000000007FD4: D3D70058 1D620954
	buffer_load_dword v47, s[20:23], 0 offen lds               // 000000007FDC: E0511000 8005002F
	s_add_u32 m0, 0x400, s48                                   // 000000007FE4: 807C30FF 00000400
	v_mfma_i32_16x16x32_i8 v[88:91], a[86:87], a[6:7], v[88:91]// 000000007FEC: D3D70058 1D620D56
	v_mfma_i32_16x16x32_i8 v[92:95], a[80:81], a[8:9], v[92:95]// 000000007FF4: D3D7005C 1D721150
	buffer_load_dword v48, s[20:23], 0 offen lds               // 000000007FFC: E0511000 80050030
	s_add_u32 m0, 0x500, s48                                   // 000000008004: 807C30FF 00000500
	v_mfma_i32_16x16x32_i8 v[92:95], a[82:83], a[10:11], v[92:95]// 00000000800C: D3D7005C 1D721552
	v_mfma_i32_16x16x32_i8 v[92:95], a[84:85], a[12:13], v[92:95]// 000000008014: D3D7005C 1D721954
	buffer_load_dword v49, s[20:23], 0 offen lds               // 00000000801C: E0511000 80050031
	s_add_u32 m0, 0x600, s48                                   // 000000008024: 807C30FF 00000600
	v_mfma_i32_16x16x32_i8 v[92:95], a[86:87], a[14:15], v[92:95]// 00000000802C: D3D7005C 1D721D56
	v_mfma_i32_16x16x32_i8 v[96:99], a[80:81], a[16:17], v[96:99]// 000000008034: D3D70060 1D822150
	buffer_load_dword v50, s[20:23], 0 offen lds               // 00000000803C: E0511000 80050032
	s_add_u32 m0, 0x700, s48                                   // 000000008044: 807C30FF 00000700
	v_mfma_i32_16x16x32_i8 v[96:99], a[82:83], a[18:19], v[96:99]// 00000000804C: D3D70060 1D822552
	v_mfma_i32_16x16x32_i8 v[96:99], a[84:85], a[20:21], v[96:99]// 000000008054: D3D70060 1D822954
	buffer_load_dword v51, s[20:23], 0 offen lds               // 00000000805C: E0511000 80050033
	s_add_u32 m0, 0, s49                                       // 000000008064: 807C3180
	v_mfma_i32_16x16x32_i8 v[96:99], a[86:87], a[22:23], v[96:99]// 000000008068: D3D70060 1D822D56
	v_mfma_i32_16x16x32_i8 v[100:103], a[80:81], a[24:25], v[100:103]// 000000008070: D3D70064 1D923150
	v_mfma_i32_16x16x32_i8 v[100:103], a[82:83], a[26:27], v[100:103]// 000000008078: D3D70064 1D923552
	v_mfma_i32_16x16x32_i8 v[100:103], a[84:85], a[28:29], v[100:103]// 000000008080: D3D70064 1D923954
	v_mfma_i32_16x16x32_i8 v[100:103], a[86:87], a[30:31], v[100:103]// 000000008088: D3D70064 1D923D56
	s_waitcnt vmcnt(16)                                        // 000000008090: BF8C4F70
	v_mfma_i32_16x16x32_i8 v[104:107], a[88:89], a[0:1], v[104:107]// 000000008094: D3D70068 1DA20158
	v_mfma_i32_16x16x32_i8 v[104:107], a[90:91], a[2:3], v[104:107]// 00000000809C: D3D70068 1DA2055A
	v_mfma_i32_16x16x32_i8 v[104:107], a[92:93], a[4:5], v[104:107]// 0000000080A4: D3D70068 1DA2095C
	v_mfma_i32_16x16x32_i8 v[104:107], a[94:95], a[6:7], v[104:107]// 0000000080AC: D3D70068 1DA20D5E
	v_mfma_i32_16x16x32_i8 v[108:111], a[88:89], a[8:9], v[108:111]// 0000000080B4: D3D7006C 1DB21158
	v_mfma_i32_16x16x32_i8 v[108:111], a[90:91], a[10:11], v[108:111]// 0000000080BC: D3D7006C 1DB2155A
	v_mfma_i32_16x16x32_i8 v[108:111], a[92:93], a[12:13], v[108:111]// 0000000080C4: D3D7006C 1DB2195C
	v_mfma_i32_16x16x32_i8 v[108:111], a[94:95], a[14:15], v[108:111]// 0000000080CC: D3D7006C 1DB21D5E
	v_mfma_i32_16x16x32_i8 v[112:115], a[88:89], a[16:17], v[112:115]// 0000000080D4: D3D70070 1DC22158
	v_mfma_i32_16x16x32_i8 v[112:115], a[90:91], a[18:19], v[112:115]// 0000000080DC: D3D70070 1DC2255A
	v_mfma_i32_16x16x32_i8 v[112:115], a[92:93], a[20:21], v[112:115]// 0000000080E4: D3D70070 1DC2295C
	v_mfma_i32_16x16x32_i8 v[112:115], a[94:95], a[22:23], v[112:115]// 0000000080EC: D3D70070 1DC22D5E
	v_mfma_i32_16x16x32_i8 v[116:119], a[88:89], a[24:25], v[116:119]// 0000000080F4: D3D70074 1DD23158
	v_mfma_i32_16x16x32_i8 v[116:119], a[90:91], a[26:27], v[116:119]// 0000000080FC: D3D70074 1DD2355A
	s_add_u32 s60, 0x80, s80                                   // 000000008104: 803C50FF 00000080
	s_cmp_lt_u32 s60, s81                                      // 00000000810C: BF0A513C
	s_cselect_b32 s83, s83, 0                                  // 000000008110: 85538053
	v_mfma_i32_16x16x32_i8 v[116:119], a[92:93], a[28:29], v[116:119]// 000000008114: D3D70074 1DD2395C
	v_mfma_i32_16x16x32_i8 v[116:119], a[94:95], a[30:31], v[116:119]// 00000000811C: D3D70074 1DD23D5E
	s_waitcnt vmcnt(8)                                         // 000000008124: BF8C0F78
	v_mfma_i32_16x16x32_i8 v[120:123], a[96:97], a[0:1], v[120:123]// 000000008128: D3D70078 1DE20160
	buffer_load_dwordx4 a[64:67], v52, s[24:27], 0 offen       // 000000008130: E05C1000 80864034
	v_mfma_i32_16x16x32_i8 v[120:123], a[98:99], a[2:3], v[120:123]// 000000008138: D3D70078 1DE20562
	v_mfma_i32_16x16x32_i8 v[120:123], a[100:101], a[4:5], v[120:123]// 000000008140: D3D70078 1DE20964
	ds_read_b128 a[32:35], v2 offset:8320                      // 000000008148: DBFE2080 20000002
	ds_read_b128 a[36:39], v2 offset:8384                      // 000000008150: DBFE20C0 24000002
	v_mfma_i32_16x16x32_i8 v[120:123], a[102:103], a[6:7], v[120:123]// 000000008158: D3D70078 1DE20D66
	v_mfma_i32_16x16x32_i8 v[136:139], a[104:105], a[0:1], v[136:139]// 000000008160: D3D70088 1E220168
	buffer_load_dwordx4 a[68:71], v52, s[24:27], 0 offen offset:1024// 000000008168: E05C1400 80864434
	v_mfma_i32_16x16x32_i8 v[136:139], a[106:107], a[2:3], v[136:139]// 000000008170: D3D70088 1E22056A
	v_mfma_i32_16x16x32_i8 v[136:139], a[108:109], a[4:5], v[136:139]// 000000008178: D3D70088 1E22096C
	ds_read_b128 a[40:43], v2 offset:8832                      // 000000008180: DBFE2280 28000002
	ds_read_b128 a[44:47], v2 offset:8896                      // 000000008188: DBFE22C0 2C000002
	v_mfma_i32_16x16x32_i8 v[136:139], a[110:111], a[6:7], v[136:139]// 000000008190: D3D70088 1E220D6E
	v_mfma_i32_16x16x32_i8 v[152:155], a[112:113], a[0:1], v[152:155]// 000000008198: D3D70098 1E620170
	buffer_load_dwordx4 a[72:75], v53, s[24:27], 0 offen       // 0000000081A0: E05C1000 80864835
	v_mfma_i32_16x16x32_i8 v[152:155], a[114:115], a[2:3], v[152:155]// 0000000081A8: D3D70098 1E620572
	v_mfma_i32_16x16x32_i8 v[152:155], a[116:117], a[4:5], v[152:155]// 0000000081B0: D3D70098 1E620974
	ds_read_b128 a[48:51], v2 offset:9344                      // 0000000081B8: DBFE2480 30000002
	ds_read_b128 a[52:55], v2 offset:9408                      // 0000000081C0: DBFE24C0 34000002
	v_mfma_i32_16x16x32_i8 v[152:155], a[118:119], a[6:7], v[152:155]// 0000000081C8: D3D70098 1E620D76
	v_mfma_i32_16x16x32_i8 v[168:171], a[120:121], a[0:1], v[168:171]// 0000000081D0: D3D700A8 1EA20178
	buffer_load_dwordx4 a[76:79], v53, s[24:27], 0 offen offset:1024// 0000000081D8: E05C1400 80864C35
	v_mfma_i32_16x16x32_i8 v[168:171], a[122:123], a[2:3], v[168:171]// 0000000081E0: D3D700A8 1EA2057A
	v_mfma_i32_16x16x32_i8 v[168:171], a[124:125], a[4:5], v[168:171]// 0000000081E8: D3D700A8 1EA2097C
	ds_read_b128 a[56:59], v2 offset:9856                      // 0000000081F0: DBFE2680 38000002
	ds_read_b128 a[60:63], v2 offset:9920                      // 0000000081F8: DBFE26C0 3C000002
	v_mfma_i32_16x16x32_i8 v[168:171], a[126:127], a[6:7], v[168:171]// 000000008200: D3D700A8 1EA20D7E
	v_mfma_i32_16x16x32_i8 v[124:127], a[96:97], a[8:9], v[124:127]// 000000008208: D3D7007C 1DF21160
	buffer_load_dwordx4 a[80:83], v54, s[24:27], 0 offen       // 000000008210: E05C1000 80865036
	v_mfma_i32_16x16x32_i8 v[124:127], a[98:99], a[10:11], v[124:127]// 000000008218: D3D7007C 1DF21562
	v_mfma_i32_16x16x32_i8 v[124:127], a[100:101], a[12:13], v[124:127]// 000000008220: D3D7007C 1DF21964
	v_mfma_i32_16x16x32_i8 v[124:127], a[102:103], a[14:15], v[124:127]// 000000008228: D3D7007C 1DF21D66
	v_mfma_i32_16x16x32_i8 v[140:143], a[104:105], a[8:9], v[140:143]// 000000008230: D3D7008C 1E321168
	buffer_load_dwordx4 a[84:87], v54, s[24:27], 0 offen offset:1024// 000000008238: E05C1400 80865436
	v_mfma_i32_16x16x32_i8 v[140:143], a[106:107], a[10:11], v[140:143]// 000000008240: D3D7008C 1E32156A
	v_mfma_i32_16x16x32_i8 v[140:143], a[108:109], a[12:13], v[140:143]// 000000008248: D3D7008C 1E32196C
	v_mfma_i32_16x16x32_i8 v[140:143], a[110:111], a[14:15], v[140:143]// 000000008250: D3D7008C 1E321D6E
	v_mfma_i32_16x16x32_i8 v[156:159], a[112:113], a[8:9], v[156:159]// 000000008258: D3D7009C 1E721170
	buffer_load_dwordx4 a[88:91], v55, s[24:27], 0 offen       // 000000008260: E05C1000 80865837
	v_mfma_i32_16x16x32_i8 v[156:159], a[114:115], a[10:11], v[156:159]// 000000008268: D3D7009C 1E721572
	v_mfma_i32_16x16x32_i8 v[156:159], a[116:117], a[12:13], v[156:159]// 000000008270: D3D7009C 1E721974
	v_mfma_i32_16x16x32_i8 v[156:159], a[118:119], a[14:15], v[156:159]// 000000008278: D3D7009C 1E721D76
	v_mfma_i32_16x16x32_i8 v[172:175], a[120:121], a[8:9], v[172:175]// 000000008280: D3D700AC 1EB21178
	buffer_load_dwordx4 a[92:95], v55, s[24:27], 0 offen offset:1024// 000000008288: E05C1400 80865C37
	v_mfma_i32_16x16x32_i8 v[172:175], a[122:123], a[10:11], v[172:175]// 000000008290: D3D700AC 1EB2157A
	v_mfma_i32_16x16x32_i8 v[172:175], a[124:125], a[12:13], v[172:175]// 000000008298: D3D700AC 1EB2197C
	v_mfma_i32_16x16x32_i8 v[172:175], a[126:127], a[14:15], v[172:175]// 0000000082A0: D3D700AC 1EB21D7E
	v_mfma_i32_16x16x32_i8 v[128:131], a[96:97], a[16:17], v[128:131]// 0000000082A8: D3D70080 1E022160
	v_mfma_i32_16x16x32_i8 v[128:131], a[98:99], a[18:19], v[128:131]// 0000000082B0: D3D70080 1E022562
	v_mfma_i32_16x16x32_i8 v[128:131], a[100:101], a[20:21], v[128:131]// 0000000082B8: D3D70080 1E022964
	v_mfma_i32_16x16x32_i8 v[128:131], a[102:103], a[22:23], v[128:131]// 0000000082C0: D3D70080 1E022D66
	v_mfma_i32_16x16x32_i8 v[144:147], a[104:105], a[16:17], v[144:147]// 0000000082C8: D3D70090 1E422168
	v_mfma_i32_16x16x32_i8 v[144:147], a[106:107], a[18:19], v[144:147]// 0000000082D0: D3D70090 1E42256A
	v_mfma_i32_16x16x32_i8 v[144:147], a[108:109], a[20:21], v[144:147]// 0000000082D8: D3D70090 1E42296C
	v_mfma_i32_16x16x32_i8 v[144:147], a[110:111], a[22:23], v[144:147]// 0000000082E0: D3D70090 1E422D6E
	v_mfma_i32_16x16x32_i8 v[160:163], a[112:113], a[16:17], v[160:163]// 0000000082E8: D3D700A0 1E822170
	v_mfma_i32_16x16x32_i8 v[160:163], a[114:115], a[18:19], v[160:163]// 0000000082F0: D3D700A0 1E822572
	v_mfma_i32_16x16x32_i8 v[160:163], a[116:117], a[20:21], v[160:163]// 0000000082F8: D3D700A0 1E822974
	v_mfma_i32_16x16x32_i8 v[160:163], a[118:119], a[22:23], v[160:163]// 000000008300: D3D700A0 1E822D76
	v_mfma_i32_16x16x32_i8 v[176:179], a[120:121], a[16:17], v[176:179]// 000000008308: D3D700B0 1EC22178
	v_mfma_i32_16x16x32_i8 v[176:179], a[122:123], a[18:19], v[176:179]// 000000008310: D3D700B0 1EC2257A
	v_mfma_i32_16x16x32_i8 v[176:179], a[124:125], a[20:21], v[176:179]// 000000008318: D3D700B0 1EC2297C
	v_mfma_i32_16x16x32_i8 v[176:179], a[126:127], a[22:23], v[176:179]// 000000008320: D3D700B0 1EC22D7E
	v_mfma_i32_16x16x32_i8 v[132:135], a[96:97], a[24:25], v[132:135]// 000000008328: D3D70084 1E123160
	v_mfma_i32_16x16x32_i8 v[132:135], a[98:99], a[26:27], v[132:135]// 000000008330: D3D70084 1E123562
	v_mfma_i32_16x16x32_i8 v[132:135], a[100:101], a[28:29], v[132:135]// 000000008338: D3D70084 1E123964
	v_mfma_i32_16x16x32_i8 v[132:135], a[102:103], a[30:31], v[132:135]// 000000008340: D3D70084 1E123D66
	v_mfma_i32_16x16x32_i8 v[148:151], a[104:105], a[24:25], v[148:151]// 000000008348: D3D70094 1E523168
	v_mfma_i32_16x16x32_i8 v[148:151], a[106:107], a[26:27], v[148:151]// 000000008350: D3D70094 1E52356A
	v_mfma_i32_16x16x32_i8 v[148:151], a[108:109], a[28:29], v[148:151]// 000000008358: D3D70094 1E52396C
	v_mfma_i32_16x16x32_i8 v[148:151], a[110:111], a[30:31], v[148:151]// 000000008360: D3D70094 1E523D6E
	v_mfma_i32_16x16x32_i8 v[164:167], a[112:113], a[24:25], v[164:167]// 000000008368: D3D700A4 1E923170
	v_mfma_i32_16x16x32_i8 v[164:167], a[114:115], a[26:27], v[164:167]// 000000008370: D3D700A4 1E923572
	v_mfma_i32_16x16x32_i8 v[164:167], a[116:117], a[28:29], v[164:167]// 000000008378: D3D700A4 1E923974
	s_add_u32 s60, 0x180, s80                                  // 000000008380: 803C50FF 00000180
	s_cmp_lt_u32 s60, s81                                      // 000000008388: BF0A513C
	s_cselect_b32 s57, s57, 0                                  // 00000000838C: 85398039
	v_mfma_i32_16x16x32_i8 v[164:167], a[118:119], a[30:31], v[164:167]// 000000008390: D3D700A4 1E923D76
	s_add_u32 s60, 0x100, s80                                  // 000000008398: 803C50FF 00000100
	s_cmp_lt_u32 s60, s81                                      // 0000000083A0: BF0A513C
	s_cselect_b32 s58, s58, 0                                  // 0000000083A4: 853A803A
	v_mfma_i32_16x16x32_i8 v[180:183], a[120:121], a[24:25], v[180:183]// 0000000083A8: D3D700B4 1ED23178
	s_add_u32 s24, s58, s24                                    // 0000000083B0: 8018183A
	s_addc_u32 s25, 0, s25                                     // 0000000083B4: 82191980
	v_mfma_i32_16x16x32_i8 v[180:183], a[122:123], a[26:27], v[180:183]// 0000000083B8: D3D700B4 1ED2357A
	s_add_u32 s20, s57, s20                                    // 0000000083C0: 80141439
	s_addc_u32 s21, 0, s21                                     // 0000000083C4: 82151580
	v_mfma_i32_16x16x32_i8 v[180:183], a[124:125], a[28:29], v[180:183]// 0000000083C8: D3D700B4 1ED2397C
	s_add_u32 s84, s83, s84                                    // 0000000083D0: 80545453
	s_addc_u32 s85, 0, s85                                     // 0000000083D4: 82555580
	v_mfma_i32_16x16x32_i8 v[180:183], a[126:127], a[30:31], v[180:183]// 0000000083D8: D3D700B4 1ED23D7E
	s_addk_i32 s80, 0x80                                       // 0000000083E0: B7500080
	s_cmp_lt_i32 s80, s81                                      // 0000000083E4: BF045150
	s_cbranch_scc0 label_17E9                                  // 0000000083E8: BF84016B
	s_waitcnt vmcnt(6) lgkmcnt(0)                              // 0000000083EC: BF8C0076
	s_barrier                                                  // 0000000083F0: BF8A0000
	v_mfma_i32_16x16x32_i8 v[56:59], a[64:65], a[32:33], v[56:59]// 0000000083F4: D3D70038 1CE24140
	buffer_load_dwordx4 a[96:99], v52, s[84:87], 0 offen       // 0000000083FC: E05C1000 80956034
	v_mfma_i32_16x16x32_i8 v[56:59], a[66:67], a[34:35], v[56:59]// 000000008404: D3D70038 1CE24542
	v_mfma_i32_16x16x32_i8 v[56:59], a[68:69], a[36:37], v[56:59]// 00000000840C: D3D70038 1CE24944
	v_mfma_i32_16x16x32_i8 v[56:59], a[70:71], a[38:39], v[56:59]// 000000008414: D3D70038 1CE24D46
	v_mfma_i32_16x16x32_i8 v[60:63], a[64:65], a[40:41], v[60:63]// 00000000841C: D3D7003C 1CF25140
	buffer_load_dwordx4 a[100:103], v52, s[84:87], 0 offen offset:1024// 000000008424: E05C1400 80956434
	v_mfma_i32_16x16x32_i8 v[60:63], a[66:67], a[42:43], v[60:63]// 00000000842C: D3D7003C 1CF25542
	v_mfma_i32_16x16x32_i8 v[60:63], a[68:69], a[44:45], v[60:63]// 000000008434: D3D7003C 1CF25944
	v_mfma_i32_16x16x32_i8 v[60:63], a[70:71], a[46:47], v[60:63]// 00000000843C: D3D7003C 1CF25D46
	v_mfma_i32_16x16x32_i8 v[64:67], a[64:65], a[48:49], v[64:67]// 000000008444: D3D70040 1D026140
	buffer_load_dwordx4 a[104:107], v53, s[84:87], 0 offen     // 00000000844C: E05C1000 80956835
	v_mfma_i32_16x16x32_i8 v[64:67], a[66:67], a[50:51], v[64:67]// 000000008454: D3D70040 1D026542
	v_mfma_i32_16x16x32_i8 v[64:67], a[68:69], a[52:53], v[64:67]// 00000000845C: D3D70040 1D026944
	v_mfma_i32_16x16x32_i8 v[64:67], a[70:71], a[54:55], v[64:67]// 000000008464: D3D70040 1D026D46
	v_mfma_i32_16x16x32_i8 v[68:71], a[64:65], a[56:57], v[68:71]// 00000000846C: D3D70044 1D127140
	buffer_load_dwordx4 a[108:111], v53, s[84:87], 0 offen offset:1024// 000000008474: E05C1400 80956C35
	v_mfma_i32_16x16x32_i8 v[68:71], a[66:67], a[58:59], v[68:71]// 00000000847C: D3D70044 1D127542
	v_mfma_i32_16x16x32_i8 v[68:71], a[68:69], a[60:61], v[68:71]// 000000008484: D3D70044 1D127944
	v_mfma_i32_16x16x32_i8 v[68:71], a[70:71], a[62:63], v[68:71]// 00000000848C: D3D70044 1D127D46
	s_waitcnt vmcnt(8)                                         // 000000008494: BF8C0F78
	v_mfma_i32_16x16x32_i8 v[72:75], a[72:73], a[32:33], v[72:75]// 000000008498: D3D70048 1D224148
	buffer_load_dwordx4 a[112:115], v54, s[84:87], 0 offen     // 0000000084A0: E05C1000 80957036
	v_mfma_i32_16x16x32_i8 v[72:75], a[74:75], a[34:35], v[72:75]// 0000000084A8: D3D70048 1D22454A
	v_mfma_i32_16x16x32_i8 v[72:75], a[76:77], a[36:37], v[72:75]// 0000000084B0: D3D70048 1D22494C
	v_mfma_i32_16x16x32_i8 v[72:75], a[78:79], a[38:39], v[72:75]// 0000000084B8: D3D70048 1D224D4E
	v_mfma_i32_16x16x32_i8 v[76:79], a[72:73], a[40:41], v[76:79]// 0000000084C0: D3D7004C 1D325148
	buffer_load_dwordx4 a[116:119], v54, s[84:87], 0 offen offset:1024// 0000000084C8: E05C1400 80957436
	v_mfma_i32_16x16x32_i8 v[76:79], a[74:75], a[42:43], v[76:79]// 0000000084D0: D3D7004C 1D32554A
	v_mfma_i32_16x16x32_i8 v[76:79], a[76:77], a[44:45], v[76:79]// 0000000084D8: D3D7004C 1D32594C
	v_mfma_i32_16x16x32_i8 v[76:79], a[78:79], a[46:47], v[76:79]// 0000000084E0: D3D7004C 1D325D4E
	v_mfma_i32_16x16x32_i8 v[80:83], a[72:73], a[48:49], v[80:83]// 0000000084E8: D3D70050 1D426148
	buffer_load_dwordx4 a[120:123], v55, s[84:87], 0 offen     // 0000000084F0: E05C1000 80957837
	v_mfma_i32_16x16x32_i8 v[80:83], a[74:75], a[50:51], v[80:83]// 0000000084F8: D3D70050 1D42654A
	v_mfma_i32_16x16x32_i8 v[80:83], a[76:77], a[52:53], v[80:83]// 000000008500: D3D70050 1D42694C
	v_mfma_i32_16x16x32_i8 v[80:83], a[78:79], a[54:55], v[80:83]// 000000008508: D3D70050 1D426D4E
	v_mfma_i32_16x16x32_i8 v[84:87], a[72:73], a[56:57], v[84:87]// 000000008510: D3D70054 1D527148
	buffer_load_dwordx4 a[124:127], v55, s[84:87], 0 offen offset:1024// 000000008518: E05C1400 80957C37
	buffer_load_dword v44, s[20:23], 0 offen lds               // 000000008520: E0511000 8005002C
	s_add_u32 m0, 0x100, s49                                   // 000000008528: 807C31FF 00000100
	v_mfma_i32_16x16x32_i8 v[84:87], a[74:75], a[58:59], v[84:87]// 000000008530: D3D70054 1D52754A
	v_mfma_i32_16x16x32_i8 v[84:87], a[76:77], a[60:61], v[84:87]// 000000008538: D3D70054 1D52794C
	buffer_load_dword v45, s[20:23], 0 offen lds               // 000000008540: E0511000 8005002D
	s_add_u32 m0, 0x200, s49                                   // 000000008548: 807C31FF 00000200
	v_mfma_i32_16x16x32_i8 v[84:87], a[78:79], a[62:63], v[84:87]// 000000008550: D3D70054 1D527D4E
	s_waitcnt vmcnt(12)                                        // 000000008558: BF8C0F7C
	v_mfma_i32_16x16x32_i8 v[88:91], a[80:81], a[32:33], v[88:91]// 00000000855C: D3D70058 1D624150
	buffer_load_dword v46, s[20:23], 0 offen lds               // 000000008564: E0511000 8005002E
	s_add_u32 m0, 0x300, s49                                   // 00000000856C: 807C31FF 00000300
	v_mfma_i32_16x16x32_i8 v[88:91], a[82:83], a[34:35], v[88:91]// 000000008574: D3D70058 1D624552
	v_mfma_i32_16x16x32_i8 v[88:91], a[84:85], a[36:37], v[88:91]// 00000000857C: D3D70058 1D624954
	buffer_load_dword v47, s[20:23], 0 offen lds               // 000000008584: E0511000 8005002F
	s_add_u32 m0, 0x400, s49                                   // 00000000858C: 807C31FF 00000400
	v_mfma_i32_16x16x32_i8 v[88:91], a[86:87], a[38:39], v[88:91]// 000000008594: D3D70058 1D624D56
	v_mfma_i32_16x16x32_i8 v[92:95], a[80:81], a[40:41], v[92:95]// 00000000859C: D3D7005C 1D725150
	buffer_load_dword v48, s[20:23], 0 offen lds               // 0000000085A4: E0511000 80050030
	s_add_u32 m0, 0x500, s49                                   // 0000000085AC: 807C31FF 00000500
	v_mfma_i32_16x16x32_i8 v[92:95], a[82:83], a[42:43], v[92:95]// 0000000085B4: D3D7005C 1D725552
	v_mfma_i32_16x16x32_i8 v[92:95], a[84:85], a[44:45], v[92:95]// 0000000085BC: D3D7005C 1D725954
	buffer_load_dword v49, s[20:23], 0 offen lds               // 0000000085C4: E0511000 80050031
	s_add_u32 m0, 0x600, s49                                   // 0000000085CC: 807C31FF 00000600
	v_mfma_i32_16x16x32_i8 v[92:95], a[86:87], a[46:47], v[92:95]// 0000000085D4: D3D7005C 1D725D56
	v_mfma_i32_16x16x32_i8 v[96:99], a[80:81], a[48:49], v[96:99]// 0000000085DC: D3D70060 1D826150
	buffer_load_dword v50, s[20:23], 0 offen lds               // 0000000085E4: E0511000 80050032
	s_add_u32 m0, 0x700, s49                                   // 0000000085EC: 807C31FF 00000700
	v_mfma_i32_16x16x32_i8 v[96:99], a[82:83], a[50:51], v[96:99]// 0000000085F4: D3D70060 1D826552
	v_mfma_i32_16x16x32_i8 v[96:99], a[84:85], a[52:53], v[96:99]// 0000000085FC: D3D70060 1D826954
	buffer_load_dword v51, s[20:23], 0 offen lds               // 000000008604: E0511000 80050033
	s_add_u32 m0, 0, s48                                       // 00000000860C: 807C3080
	v_mfma_i32_16x16x32_i8 v[96:99], a[86:87], a[54:55], v[96:99]// 000000008610: D3D70060 1D826D56
	v_mfma_i32_16x16x32_i8 v[100:103], a[80:81], a[56:57], v[100:103]// 000000008618: D3D70064 1D927150
	v_mfma_i32_16x16x32_i8 v[100:103], a[82:83], a[58:59], v[100:103]// 000000008620: D3D70064 1D927552
	v_mfma_i32_16x16x32_i8 v[100:103], a[84:85], a[60:61], v[100:103]// 000000008628: D3D70064 1D927954
	v_mfma_i32_16x16x32_i8 v[100:103], a[86:87], a[62:63], v[100:103]// 000000008630: D3D70064 1D927D56
	s_waitcnt vmcnt(16)                                        // 000000008638: BF8C4F70
	v_mfma_i32_16x16x32_i8 v[104:107], a[88:89], a[32:33], v[104:107]// 00000000863C: D3D70068 1DA24158
	v_mfma_i32_16x16x32_i8 v[104:107], a[90:91], a[34:35], v[104:107]// 000000008644: D3D70068 1DA2455A
	v_mfma_i32_16x16x32_i8 v[104:107], a[92:93], a[36:37], v[104:107]// 00000000864C: D3D70068 1DA2495C
	v_mfma_i32_16x16x32_i8 v[104:107], a[94:95], a[38:39], v[104:107]// 000000008654: D3D70068 1DA24D5E
	v_mfma_i32_16x16x32_i8 v[108:111], a[88:89], a[40:41], v[108:111]// 00000000865C: D3D7006C 1DB25158
	v_mfma_i32_16x16x32_i8 v[108:111], a[90:91], a[42:43], v[108:111]// 000000008664: D3D7006C 1DB2555A
	v_mfma_i32_16x16x32_i8 v[108:111], a[92:93], a[44:45], v[108:111]// 00000000866C: D3D7006C 1DB2595C
	v_mfma_i32_16x16x32_i8 v[108:111], a[94:95], a[46:47], v[108:111]// 000000008674: D3D7006C 1DB25D5E
	v_mfma_i32_16x16x32_i8 v[112:115], a[88:89], a[48:49], v[112:115]// 00000000867C: D3D70070 1DC26158
	v_mfma_i32_16x16x32_i8 v[112:115], a[90:91], a[50:51], v[112:115]// 000000008684: D3D70070 1DC2655A
	v_mfma_i32_16x16x32_i8 v[112:115], a[92:93], a[52:53], v[112:115]// 00000000868C: D3D70070 1DC2695C
	v_mfma_i32_16x16x32_i8 v[112:115], a[94:95], a[54:55], v[112:115]// 000000008694: D3D70070 1DC26D5E
	v_mfma_i32_16x16x32_i8 v[116:119], a[88:89], a[56:57], v[116:119]// 00000000869C: D3D70074 1DD27158
	v_mfma_i32_16x16x32_i8 v[116:119], a[90:91], a[58:59], v[116:119]// 0000000086A4: D3D70074 1DD2755A
	s_add_u32 s60, 0x80, s80                                   // 0000000086AC: 803C50FF 00000080
	s_cmp_lt_u32 s60, s81                                      // 0000000086B4: BF0A513C
	s_cselect_b32 s83, s83, 0                                  // 0000000086B8: 85538053
	v_mfma_i32_16x16x32_i8 v[116:119], a[92:93], a[60:61], v[116:119]// 0000000086BC: D3D70074 1DD2795C
	v_mfma_i32_16x16x32_i8 v[116:119], a[94:95], a[62:63], v[116:119]// 0000000086C4: D3D70074 1DD27D5E
	s_waitcnt vmcnt(8)                                         // 0000000086CC: BF8C0F78
	v_mfma_i32_16x16x32_i8 v[120:123], a[96:97], a[32:33], v[120:123]// 0000000086D0: D3D70078 1DE24160
	buffer_load_dwordx4 a[64:67], v52, s[24:27], 0 offen       // 0000000086D8: E05C1000 80864034
	v_mfma_i32_16x16x32_i8 v[120:123], a[98:99], a[34:35], v[120:123]// 0000000086E0: D3D70078 1DE24562
	v_mfma_i32_16x16x32_i8 v[120:123], a[100:101], a[36:37], v[120:123]// 0000000086E8: D3D70078 1DE24964
	ds_read_b128 a[0:3], v2                                    // 0000000086F0: DBFE0000 00000002
	ds_read_b128 a[4:7], v2 offset:64                          // 0000000086F8: DBFE0040 04000002
	v_mfma_i32_16x16x32_i8 v[120:123], a[102:103], a[38:39], v[120:123]// 000000008700: D3D70078 1DE24D66
	v_mfma_i32_16x16x32_i8 v[136:139], a[104:105], a[32:33], v[136:139]// 000000008708: D3D70088 1E224168
	buffer_load_dwordx4 a[68:71], v52, s[24:27], 0 offen offset:1024// 000000008710: E05C1400 80864434
	v_mfma_i32_16x16x32_i8 v[136:139], a[106:107], a[34:35], v[136:139]// 000000008718: D3D70088 1E22456A
	v_mfma_i32_16x16x32_i8 v[136:139], a[108:109], a[36:37], v[136:139]// 000000008720: D3D70088 1E22496C
	ds_read_b128 a[8:11], v2 offset:512                        // 000000008728: DBFE0200 08000002
	ds_read_b128 a[12:15], v2 offset:576                       // 000000008730: DBFE0240 0C000002
	v_mfma_i32_16x16x32_i8 v[136:139], a[110:111], a[38:39], v[136:139]// 000000008738: D3D70088 1E224D6E
	v_mfma_i32_16x16x32_i8 v[152:155], a[112:113], a[32:33], v[152:155]// 000000008740: D3D70098 1E624170
	buffer_load_dwordx4 a[72:75], v53, s[24:27], 0 offen       // 000000008748: E05C1000 80864835
	v_mfma_i32_16x16x32_i8 v[152:155], a[114:115], a[34:35], v[152:155]// 000000008750: D3D70098 1E624572
	v_mfma_i32_16x16x32_i8 v[152:155], a[116:117], a[36:37], v[152:155]// 000000008758: D3D70098 1E624974
	ds_read_b128 a[16:19], v2 offset:1024                      // 000000008760: DBFE0400 10000002
	ds_read_b128 a[20:23], v2 offset:1088                      // 000000008768: DBFE0440 14000002
	v_mfma_i32_16x16x32_i8 v[152:155], a[118:119], a[38:39], v[152:155]// 000000008770: D3D70098 1E624D76
	v_mfma_i32_16x16x32_i8 v[168:171], a[120:121], a[32:33], v[168:171]// 000000008778: D3D700A8 1EA24178
	buffer_load_dwordx4 a[76:79], v53, s[24:27], 0 offen offset:1024// 000000008780: E05C1400 80864C35
	v_mfma_i32_16x16x32_i8 v[168:171], a[122:123], a[34:35], v[168:171]// 000000008788: D3D700A8 1EA2457A
	v_mfma_i32_16x16x32_i8 v[168:171], a[124:125], a[36:37], v[168:171]// 000000008790: D3D700A8 1EA2497C
	ds_read_b128 a[24:27], v2 offset:1536                      // 000000008798: DBFE0600 18000002
	ds_read_b128 a[28:31], v2 offset:1600                      // 0000000087A0: DBFE0640 1C000002
	v_mfma_i32_16x16x32_i8 v[168:171], a[126:127], a[38:39], v[168:171]// 0000000087A8: D3D700A8 1EA24D7E
	v_mfma_i32_16x16x32_i8 v[124:127], a[96:97], a[40:41], v[124:127]// 0000000087B0: D3D7007C 1DF25160
	buffer_load_dwordx4 a[80:83], v54, s[24:27], 0 offen       // 0000000087B8: E05C1000 80865036
	v_mfma_i32_16x16x32_i8 v[124:127], a[98:99], a[42:43], v[124:127]// 0000000087C0: D3D7007C 1DF25562
	v_mfma_i32_16x16x32_i8 v[124:127], a[100:101], a[44:45], v[124:127]// 0000000087C8: D3D7007C 1DF25964
	v_mfma_i32_16x16x32_i8 v[124:127], a[102:103], a[46:47], v[124:127]// 0000000087D0: D3D7007C 1DF25D66
	v_mfma_i32_16x16x32_i8 v[140:143], a[104:105], a[40:41], v[140:143]// 0000000087D8: D3D7008C 1E325168
	buffer_load_dwordx4 a[84:87], v54, s[24:27], 0 offen offset:1024// 0000000087E0: E05C1400 80865436
	v_mfma_i32_16x16x32_i8 v[140:143], a[106:107], a[42:43], v[140:143]// 0000000087E8: D3D7008C 1E32556A
	v_mfma_i32_16x16x32_i8 v[140:143], a[108:109], a[44:45], v[140:143]// 0000000087F0: D3D7008C 1E32596C
	v_mfma_i32_16x16x32_i8 v[140:143], a[110:111], a[46:47], v[140:143]// 0000000087F8: D3D7008C 1E325D6E
	v_mfma_i32_16x16x32_i8 v[156:159], a[112:113], a[40:41], v[156:159]// 000000008800: D3D7009C 1E725170
	buffer_load_dwordx4 a[88:91], v55, s[24:27], 0 offen       // 000000008808: E05C1000 80865837
	v_mfma_i32_16x16x32_i8 v[156:159], a[114:115], a[42:43], v[156:159]// 000000008810: D3D7009C 1E725572
	v_mfma_i32_16x16x32_i8 v[156:159], a[116:117], a[44:45], v[156:159]// 000000008818: D3D7009C 1E725974
	v_mfma_i32_16x16x32_i8 v[156:159], a[118:119], a[46:47], v[156:159]// 000000008820: D3D7009C 1E725D76
	v_mfma_i32_16x16x32_i8 v[172:175], a[120:121], a[40:41], v[172:175]// 000000008828: D3D700AC 1EB25178
	buffer_load_dwordx4 a[92:95], v55, s[24:27], 0 offen offset:1024// 000000008830: E05C1400 80865C37
	v_mfma_i32_16x16x32_i8 v[172:175], a[122:123], a[42:43], v[172:175]// 000000008838: D3D700AC 1EB2557A
	v_mfma_i32_16x16x32_i8 v[172:175], a[124:125], a[44:45], v[172:175]// 000000008840: D3D700AC 1EB2597C
	v_mfma_i32_16x16x32_i8 v[172:175], a[126:127], a[46:47], v[172:175]// 000000008848: D3D700AC 1EB25D7E
	v_mfma_i32_16x16x32_i8 v[128:131], a[96:97], a[48:49], v[128:131]// 000000008850: D3D70080 1E026160
	v_mfma_i32_16x16x32_i8 v[128:131], a[98:99], a[50:51], v[128:131]// 000000008858: D3D70080 1E026562
	v_mfma_i32_16x16x32_i8 v[128:131], a[100:101], a[52:53], v[128:131]// 000000008860: D3D70080 1E026964
	v_mfma_i32_16x16x32_i8 v[128:131], a[102:103], a[54:55], v[128:131]// 000000008868: D3D70080 1E026D66
	v_mfma_i32_16x16x32_i8 v[144:147], a[104:105], a[48:49], v[144:147]// 000000008870: D3D70090 1E426168
	v_mfma_i32_16x16x32_i8 v[144:147], a[106:107], a[50:51], v[144:147]// 000000008878: D3D70090 1E42656A
	v_mfma_i32_16x16x32_i8 v[144:147], a[108:109], a[52:53], v[144:147]// 000000008880: D3D70090 1E42696C
	v_mfma_i32_16x16x32_i8 v[144:147], a[110:111], a[54:55], v[144:147]// 000000008888: D3D70090 1E426D6E
	v_mfma_i32_16x16x32_i8 v[160:163], a[112:113], a[48:49], v[160:163]// 000000008890: D3D700A0 1E826170
	v_mfma_i32_16x16x32_i8 v[160:163], a[114:115], a[50:51], v[160:163]// 000000008898: D3D700A0 1E826572
	v_mfma_i32_16x16x32_i8 v[160:163], a[116:117], a[52:53], v[160:163]// 0000000088A0: D3D700A0 1E826974
	v_mfma_i32_16x16x32_i8 v[160:163], a[118:119], a[54:55], v[160:163]// 0000000088A8: D3D700A0 1E826D76
	v_mfma_i32_16x16x32_i8 v[176:179], a[120:121], a[48:49], v[176:179]// 0000000088B0: D3D700B0 1EC26178
	v_mfma_i32_16x16x32_i8 v[176:179], a[122:123], a[50:51], v[176:179]// 0000000088B8: D3D700B0 1EC2657A
	v_mfma_i32_16x16x32_i8 v[176:179], a[124:125], a[52:53], v[176:179]// 0000000088C0: D3D700B0 1EC2697C
	v_mfma_i32_16x16x32_i8 v[176:179], a[126:127], a[54:55], v[176:179]// 0000000088C8: D3D700B0 1EC26D7E
	v_mfma_i32_16x16x32_i8 v[132:135], a[96:97], a[56:57], v[132:135]// 0000000088D0: D3D70084 1E127160
	v_mfma_i32_16x16x32_i8 v[132:135], a[98:99], a[58:59], v[132:135]// 0000000088D8: D3D70084 1E127562
	v_mfma_i32_16x16x32_i8 v[132:135], a[100:101], a[60:61], v[132:135]// 0000000088E0: D3D70084 1E127964
	v_mfma_i32_16x16x32_i8 v[132:135], a[102:103], a[62:63], v[132:135]// 0000000088E8: D3D70084 1E127D66
	v_mfma_i32_16x16x32_i8 v[148:151], a[104:105], a[56:57], v[148:151]// 0000000088F0: D3D70094 1E527168
	v_mfma_i32_16x16x32_i8 v[148:151], a[106:107], a[58:59], v[148:151]// 0000000088F8: D3D70094 1E52756A
	v_mfma_i32_16x16x32_i8 v[148:151], a[108:109], a[60:61], v[148:151]// 000000008900: D3D70094 1E52796C
	v_mfma_i32_16x16x32_i8 v[148:151], a[110:111], a[62:63], v[148:151]// 000000008908: D3D70094 1E527D6E
	v_mfma_i32_16x16x32_i8 v[164:167], a[112:113], a[56:57], v[164:167]// 000000008910: D3D700A4 1E927170
	v_mfma_i32_16x16x32_i8 v[164:167], a[114:115], a[58:59], v[164:167]// 000000008918: D3D700A4 1E927572
	v_mfma_i32_16x16x32_i8 v[164:167], a[116:117], a[60:61], v[164:167]// 000000008920: D3D700A4 1E927974
	s_add_u32 s60, 0x180, s80                                  // 000000008928: 803C50FF 00000180
	s_cmp_lt_u32 s60, s81                                      // 000000008930: BF0A513C
	s_cselect_b32 s57, s57, 0                                  // 000000008934: 85398039
	v_mfma_i32_16x16x32_i8 v[164:167], a[118:119], a[62:63], v[164:167]// 000000008938: D3D700A4 1E927D76
	s_add_u32 s60, 0x100, s80                                  // 000000008940: 803C50FF 00000100
	s_cmp_lt_u32 s60, s81                                      // 000000008948: BF0A513C
	s_cselect_b32 s58, s58, 0                                  // 00000000894C: 853A803A
	v_mfma_i32_16x16x32_i8 v[180:183], a[120:121], a[56:57], v[180:183]// 000000008950: D3D700B4 1ED27178
	s_add_u32 s24, s58, s24                                    // 000000008958: 8018183A
	s_addc_u32 s25, 0, s25                                     // 00000000895C: 82191980
	v_mfma_i32_16x16x32_i8 v[180:183], a[122:123], a[58:59], v[180:183]// 000000008960: D3D700B4 1ED2757A
	s_add_u32 s20, s57, s20                                    // 000000008968: 80141439
	s_addc_u32 s21, 0, s21                                     // 00000000896C: 82151580
	v_mfma_i32_16x16x32_i8 v[180:183], a[124:125], a[60:61], v[180:183]// 000000008970: D3D700B4 1ED2797C
	s_add_u32 s84, s83, s84                                    // 000000008978: 80545453
	s_addc_u32 s85, 0, s85                                     // 00000000897C: 82555580
	v_mfma_i32_16x16x32_i8 v[180:183], a[126:127], a[62:63], v[180:183]// 000000008980: D3D700B4 1ED27D7E
	s_addk_i32 s80, 0x80                                       // 000000008988: B7500080
	s_cmp_lt_i32 s80, s81                                      // 00000000898C: BF045150
	s_cbranch_scc0 label_17E9                                  // 000000008990: BF840001
	s_branch label_1514                                        // 000000008994: BF82FD2B

0000000000008998 <label_17E9>:
	v_cvt_f32_i32_e32 v56, v56                                 // 000000008998: 7E700B38
	v_cvt_f32_i32_e32 v57, v57                                 // 00000000899C: 7E720B39
	v_cvt_f32_i32_e32 v58, v58                                 // 0000000089A0: 7E740B3A
	v_cvt_f32_i32_e32 v59, v59                                 // 0000000089A4: 7E760B3B
	v_mul_f32_dpp v56, v24, v56 row_newbcast:0 row_mask:0xf bank_mask:0xf// 0000000089A8: 0A7070FA FF015018
	v_mul_f32_dpp v57, v24, v57 row_newbcast:1 row_mask:0xf bank_mask:0xf// 0000000089B0: 0A7272FA FF015118
	v_mul_f32_dpp v58, v24, v58 row_newbcast:2 row_mask:0xf bank_mask:0xf// 0000000089B8: 0A7474FA FF015218
	v_mul_f32_dpp v59, v24, v59 row_newbcast:3 row_mask:0xf bank_mask:0xf// 0000000089C0: 0A7676FA FF015318
	v_cvt_f32_i32_e32 v60, v60                                 // 0000000089C8: 7E780B3C
	v_cvt_f32_i32_e32 v61, v61                                 // 0000000089CC: 7E7A0B3D
	v_cvt_f32_i32_e32 v62, v62                                 // 0000000089D0: 7E7C0B3E
	v_cvt_f32_i32_e32 v63, v63                                 // 0000000089D4: 7E7E0B3F
	v_mul_f32_dpp v60, v24, v60 row_newbcast:0 row_mask:0xf bank_mask:0xf// 0000000089D8: 0A7878FA FF015018
	v_mul_f32_dpp v61, v24, v61 row_newbcast:1 row_mask:0xf bank_mask:0xf// 0000000089E0: 0A7A7AFA FF015118
	v_mul_f32_dpp v62, v24, v62 row_newbcast:2 row_mask:0xf bank_mask:0xf// 0000000089E8: 0A7C7CFA FF015218
	v_mul_f32_dpp v63, v24, v63 row_newbcast:3 row_mask:0xf bank_mask:0xf// 0000000089F0: 0A7E7EFA FF015318
	v_cvt_f32_i32_e32 v64, v64                                 // 0000000089F8: 7E800B40
	v_cvt_f32_i32_e32 v65, v65                                 // 0000000089FC: 7E820B41
	v_cvt_f32_i32_e32 v66, v66                                 // 000000008A00: 7E840B42
	v_cvt_f32_i32_e32 v67, v67                                 // 000000008A04: 7E860B43
	v_mul_f32_dpp v64, v24, v64 row_newbcast:0 row_mask:0xf bank_mask:0xf// 000000008A08: 0A8080FA FF015018
	v_mul_f32_dpp v65, v24, v65 row_newbcast:1 row_mask:0xf bank_mask:0xf// 000000008A10: 0A8282FA FF015118
	v_mul_f32_dpp v66, v24, v66 row_newbcast:2 row_mask:0xf bank_mask:0xf// 000000008A18: 0A8484FA FF015218
	v_mul_f32_dpp v67, v24, v67 row_newbcast:3 row_mask:0xf bank_mask:0xf// 000000008A20: 0A8686FA FF015318
	v_cvt_f32_i32_e32 v68, v68                                 // 000000008A28: 7E880B44
	v_cvt_f32_i32_e32 v69, v69                                 // 000000008A2C: 7E8A0B45
	v_cvt_f32_i32_e32 v70, v70                                 // 000000008A30: 7E8C0B46
	v_cvt_f32_i32_e32 v71, v71                                 // 000000008A34: 7E8E0B47
	v_mul_f32_dpp v68, v24, v68 row_newbcast:0 row_mask:0xf bank_mask:0xf// 000000008A38: 0A8888FA FF015018
	v_mul_f32_dpp v69, v24, v69 row_newbcast:1 row_mask:0xf bank_mask:0xf// 000000008A40: 0A8A8AFA FF015118
	v_mul_f32_dpp v70, v24, v70 row_newbcast:2 row_mask:0xf bank_mask:0xf// 000000008A48: 0A8C8CFA FF015218
	v_mul_f32_dpp v71, v24, v71 row_newbcast:3 row_mask:0xf bank_mask:0xf// 000000008A50: 0A8E8EFA FF015318
	v_cvt_f32_i32_e32 v72, v72                                 // 000000008A58: 7E900B48
	v_cvt_f32_i32_e32 v73, v73                                 // 000000008A5C: 7E920B49
	v_cvt_f32_i32_e32 v74, v74                                 // 000000008A60: 7E940B4A
	v_cvt_f32_i32_e32 v75, v75                                 // 000000008A64: 7E960B4B
	v_mul_f32_dpp v72, v24, v72 row_newbcast:4 row_mask:0xf bank_mask:0xf// 000000008A68: 0A9090FA FF015418
	v_mul_f32_dpp v73, v24, v73 row_newbcast:5 row_mask:0xf bank_mask:0xf// 000000008A70: 0A9292FA FF015518
	v_mul_f32_dpp v74, v24, v74 row_newbcast:6 row_mask:0xf bank_mask:0xf// 000000008A78: 0A9494FA FF015618
	v_mul_f32_dpp v75, v24, v75 row_newbcast:7 row_mask:0xf bank_mask:0xf// 000000008A80: 0A9696FA FF015718
	v_cvt_f32_i32_e32 v76, v76                                 // 000000008A88: 7E980B4C
	v_cvt_f32_i32_e32 v77, v77                                 // 000000008A8C: 7E9A0B4D
	v_cvt_f32_i32_e32 v78, v78                                 // 000000008A90: 7E9C0B4E
	v_cvt_f32_i32_e32 v79, v79                                 // 000000008A94: 7E9E0B4F
	v_mul_f32_dpp v76, v24, v76 row_newbcast:4 row_mask:0xf bank_mask:0xf// 000000008A98: 0A9898FA FF015418
	v_mul_f32_dpp v77, v24, v77 row_newbcast:5 row_mask:0xf bank_mask:0xf// 000000008AA0: 0A9A9AFA FF015518
	v_mul_f32_dpp v78, v24, v78 row_newbcast:6 row_mask:0xf bank_mask:0xf// 000000008AA8: 0A9C9CFA FF015618
	v_mul_f32_dpp v79, v24, v79 row_newbcast:7 row_mask:0xf bank_mask:0xf// 000000008AB0: 0A9E9EFA FF015718
	v_cvt_f32_i32_e32 v80, v80                                 // 000000008AB8: 7EA00B50
	v_cvt_f32_i32_e32 v81, v81                                 // 000000008ABC: 7EA20B51
	v_cvt_f32_i32_e32 v82, v82                                 // 000000008AC0: 7EA40B52
	v_cvt_f32_i32_e32 v83, v83                                 // 000000008AC4: 7EA60B53
	v_mul_f32_dpp v80, v24, v80 row_newbcast:4 row_mask:0xf bank_mask:0xf// 000000008AC8: 0AA0A0FA FF015418
	v_mul_f32_dpp v81, v24, v81 row_newbcast:5 row_mask:0xf bank_mask:0xf// 000000008AD0: 0AA2A2FA FF015518
	v_mul_f32_dpp v82, v24, v82 row_newbcast:6 row_mask:0xf bank_mask:0xf// 000000008AD8: 0AA4A4FA FF015618
	v_mul_f32_dpp v83, v24, v83 row_newbcast:7 row_mask:0xf bank_mask:0xf// 000000008AE0: 0AA6A6FA FF015718
	v_cvt_f32_i32_e32 v84, v84                                 // 000000008AE8: 7EA80B54
	v_cvt_f32_i32_e32 v85, v85                                 // 000000008AEC: 7EAA0B55
	v_cvt_f32_i32_e32 v86, v86                                 // 000000008AF0: 7EAC0B56
	v_cvt_f32_i32_e32 v87, v87                                 // 000000008AF4: 7EAE0B57
	v_mul_f32_dpp v84, v24, v84 row_newbcast:4 row_mask:0xf bank_mask:0xf// 000000008AF8: 0AA8A8FA FF015418
	v_mul_f32_dpp v85, v24, v85 row_newbcast:5 row_mask:0xf bank_mask:0xf// 000000008B00: 0AAAAAFA FF015518
	v_mul_f32_dpp v86, v24, v86 row_newbcast:6 row_mask:0xf bank_mask:0xf// 000000008B08: 0AACACFA FF015618
	v_mul_f32_dpp v87, v24, v87 row_newbcast:7 row_mask:0xf bank_mask:0xf// 000000008B10: 0AAEAEFA FF015718
	v_cvt_f32_i32_e32 v88, v88                                 // 000000008B18: 7EB00B58
	v_cvt_f32_i32_e32 v89, v89                                 // 000000008B1C: 7EB20B59
	v_cvt_f32_i32_e32 v90, v90                                 // 000000008B20: 7EB40B5A
	v_cvt_f32_i32_e32 v91, v91                                 // 000000008B24: 7EB60B5B
	v_mul_f32_dpp v88, v24, v88 row_newbcast:8 row_mask:0xf bank_mask:0xf// 000000008B28: 0AB0B0FA FF015818
	v_mul_f32_dpp v89, v24, v89 row_newbcast:9 row_mask:0xf bank_mask:0xf// 000000008B30: 0AB2B2FA FF015918
	v_mul_f32_dpp v90, v24, v90 row_newbcast:10 row_mask:0xf bank_mask:0xf// 000000008B38: 0AB4B4FA FF015A18
	v_mul_f32_dpp v91, v24, v91 row_newbcast:11 row_mask:0xf bank_mask:0xf// 000000008B40: 0AB6B6FA FF015B18
	v_cvt_f32_i32_e32 v92, v92                                 // 000000008B48: 7EB80B5C
	v_cvt_f32_i32_e32 v93, v93                                 // 000000008B4C: 7EBA0B5D
	v_cvt_f32_i32_e32 v94, v94                                 // 000000008B50: 7EBC0B5E
	v_cvt_f32_i32_e32 v95, v95                                 // 000000008B54: 7EBE0B5F
	v_mul_f32_dpp v92, v24, v92 row_newbcast:8 row_mask:0xf bank_mask:0xf// 000000008B58: 0AB8B8FA FF015818
	v_mul_f32_dpp v93, v24, v93 row_newbcast:9 row_mask:0xf bank_mask:0xf// 000000008B60: 0ABABAFA FF015918
	v_mul_f32_dpp v94, v24, v94 row_newbcast:10 row_mask:0xf bank_mask:0xf// 000000008B68: 0ABCBCFA FF015A18
	v_mul_f32_dpp v95, v24, v95 row_newbcast:11 row_mask:0xf bank_mask:0xf// 000000008B70: 0ABEBEFA FF015B18
	v_cvt_f32_i32_e32 v96, v96                                 // 000000008B78: 7EC00B60
	v_cvt_f32_i32_e32 v97, v97                                 // 000000008B7C: 7EC20B61
	v_cvt_f32_i32_e32 v98, v98                                 // 000000008B80: 7EC40B62
	v_cvt_f32_i32_e32 v99, v99                                 // 000000008B84: 7EC60B63
	v_mul_f32_dpp v96, v24, v96 row_newbcast:8 row_mask:0xf bank_mask:0xf// 000000008B88: 0AC0C0FA FF015818
	v_mul_f32_dpp v97, v24, v97 row_newbcast:9 row_mask:0xf bank_mask:0xf// 000000008B90: 0AC2C2FA FF015918
	v_mul_f32_dpp v98, v24, v98 row_newbcast:10 row_mask:0xf bank_mask:0xf// 000000008B98: 0AC4C4FA FF015A18
	v_mul_f32_dpp v99, v24, v99 row_newbcast:11 row_mask:0xf bank_mask:0xf// 000000008BA0: 0AC6C6FA FF015B18
	v_cvt_f32_i32_e32 v100, v100                               // 000000008BA8: 7EC80B64
	v_cvt_f32_i32_e32 v101, v101                               // 000000008BAC: 7ECA0B65
	v_cvt_f32_i32_e32 v102, v102                               // 000000008BB0: 7ECC0B66
	v_cvt_f32_i32_e32 v103, v103                               // 000000008BB4: 7ECE0B67
	v_mul_f32_dpp v100, v24, v100 row_newbcast:8 row_mask:0xf bank_mask:0xf// 000000008BB8: 0AC8C8FA FF015818
	v_mul_f32_dpp v101, v24, v101 row_newbcast:9 row_mask:0xf bank_mask:0xf// 000000008BC0: 0ACACAFA FF015918
	v_mul_f32_dpp v102, v24, v102 row_newbcast:10 row_mask:0xf bank_mask:0xf// 000000008BC8: 0ACCCCFA FF015A18
	v_mul_f32_dpp v103, v24, v103 row_newbcast:11 row_mask:0xf bank_mask:0xf// 000000008BD0: 0ACECEFA FF015B18
	v_cvt_f32_i32_e32 v104, v104                               // 000000008BD8: 7ED00B68
	v_cvt_f32_i32_e32 v105, v105                               // 000000008BDC: 7ED20B69
	v_cvt_f32_i32_e32 v106, v106                               // 000000008BE0: 7ED40B6A
	v_cvt_f32_i32_e32 v107, v107                               // 000000008BE4: 7ED60B6B
	v_mul_f32_dpp v104, v24, v104 row_newbcast:12 row_mask:0xf bank_mask:0xf// 000000008BE8: 0AD0D0FA FF015C18
	v_mul_f32_dpp v105, v24, v105 row_newbcast:13 row_mask:0xf bank_mask:0xf// 000000008BF0: 0AD2D2FA FF015D18
	v_mul_f32_dpp v106, v24, v106 row_newbcast:14 row_mask:0xf bank_mask:0xf// 000000008BF8: 0AD4D4FA FF015E18
	v_mul_f32_dpp v107, v24, v107 row_newbcast:15 row_mask:0xf bank_mask:0xf// 000000008C00: 0AD6D6FA FF015F18
	v_cvt_f32_i32_e32 v108, v108                               // 000000008C08: 7ED80B6C
	v_cvt_f32_i32_e32 v109, v109                               // 000000008C0C: 7EDA0B6D
	v_cvt_f32_i32_e32 v110, v110                               // 000000008C10: 7EDC0B6E
	v_cvt_f32_i32_e32 v111, v111                               // 000000008C14: 7EDE0B6F
	v_mul_f32_dpp v108, v24, v108 row_newbcast:12 row_mask:0xf bank_mask:0xf// 000000008C18: 0AD8D8FA FF015C18
	v_mul_f32_dpp v109, v24, v109 row_newbcast:13 row_mask:0xf bank_mask:0xf// 000000008C20: 0ADADAFA FF015D18
	v_mul_f32_dpp v110, v24, v110 row_newbcast:14 row_mask:0xf bank_mask:0xf// 000000008C28: 0ADCDCFA FF015E18
	v_mul_f32_dpp v111, v24, v111 row_newbcast:15 row_mask:0xf bank_mask:0xf// 000000008C30: 0ADEDEFA FF015F18
	v_cvt_f32_i32_e32 v112, v112                               // 000000008C38: 7EE00B70
	v_cvt_f32_i32_e32 v113, v113                               // 000000008C3C: 7EE20B71
	v_cvt_f32_i32_e32 v114, v114                               // 000000008C40: 7EE40B72
	v_cvt_f32_i32_e32 v115, v115                               // 000000008C44: 7EE60B73
	v_mul_f32_dpp v112, v24, v112 row_newbcast:12 row_mask:0xf bank_mask:0xf// 000000008C48: 0AE0E0FA FF015C18
	v_mul_f32_dpp v113, v24, v113 row_newbcast:13 row_mask:0xf bank_mask:0xf// 000000008C50: 0AE2E2FA FF015D18
	v_mul_f32_dpp v114, v24, v114 row_newbcast:14 row_mask:0xf bank_mask:0xf// 000000008C58: 0AE4E4FA FF015E18
	v_mul_f32_dpp v115, v24, v115 row_newbcast:15 row_mask:0xf bank_mask:0xf// 000000008C60: 0AE6E6FA FF015F18
	v_cvt_f32_i32_e32 v116, v116                               // 000000008C68: 7EE80B74
	v_cvt_f32_i32_e32 v117, v117                               // 000000008C6C: 7EEA0B75
	v_cvt_f32_i32_e32 v118, v118                               // 000000008C70: 7EEC0B76
	v_cvt_f32_i32_e32 v119, v119                               // 000000008C74: 7EEE0B77
	v_mul_f32_dpp v116, v24, v116 row_newbcast:12 row_mask:0xf bank_mask:0xf// 000000008C78: 0AE8E8FA FF015C18
	v_mul_f32_dpp v117, v24, v117 row_newbcast:13 row_mask:0xf bank_mask:0xf// 000000008C80: 0AEAEAFA FF015D18
	v_mul_f32_dpp v118, v24, v118 row_newbcast:14 row_mask:0xf bank_mask:0xf// 000000008C88: 0AECECFA FF015E18
	v_mul_f32_dpp v119, v24, v119 row_newbcast:15 row_mask:0xf bank_mask:0xf// 000000008C90: 0AEEEEFA FF015F18
	v_cvt_f32_i32_e32 v120, v120                               // 000000008C98: 7EF00B78
	v_cvt_f32_i32_e32 v121, v121                               // 000000008C9C: 7EF20B79
	v_cvt_f32_i32_e32 v122, v122                               // 000000008CA0: 7EF40B7A
	v_cvt_f32_i32_e32 v123, v123                               // 000000008CA4: 7EF60B7B
	v_mul_f32_dpp v120, v26, v120 row_newbcast:0 row_mask:0xf bank_mask:0xf// 000000008CA8: 0AF0F0FA FF01501A
	v_mul_f32_dpp v121, v26, v121 row_newbcast:1 row_mask:0xf bank_mask:0xf// 000000008CB0: 0AF2F2FA FF01511A
	v_mul_f32_dpp v122, v26, v122 row_newbcast:2 row_mask:0xf bank_mask:0xf// 000000008CB8: 0AF4F4FA FF01521A
	v_mul_f32_dpp v123, v26, v123 row_newbcast:3 row_mask:0xf bank_mask:0xf// 000000008CC0: 0AF6F6FA FF01531A
	v_cvt_f32_i32_e32 v124, v124                               // 000000008CC8: 7EF80B7C
	v_cvt_f32_i32_e32 v125, v125                               // 000000008CCC: 7EFA0B7D
	v_cvt_f32_i32_e32 v126, v126                               // 000000008CD0: 7EFC0B7E
	v_cvt_f32_i32_e32 v127, v127                               // 000000008CD4: 7EFE0B7F
	v_mul_f32_dpp v124, v26, v124 row_newbcast:0 row_mask:0xf bank_mask:0xf// 000000008CD8: 0AF8F8FA FF01501A
	v_mul_f32_dpp v125, v26, v125 row_newbcast:1 row_mask:0xf bank_mask:0xf// 000000008CE0: 0AFAFAFA FF01511A
	v_mul_f32_dpp v126, v26, v126 row_newbcast:2 row_mask:0xf bank_mask:0xf// 000000008CE8: 0AFCFCFA FF01521A
	v_mul_f32_dpp v127, v26, v127 row_newbcast:3 row_mask:0xf bank_mask:0xf// 000000008CF0: 0AFEFEFA FF01531A
	v_cvt_f32_i32_e32 v128, v128                               // 000000008CF8: 7F000B80
	v_cvt_f32_i32_e32 v129, v129                               // 000000008CFC: 7F020B81
	v_cvt_f32_i32_e32 v130, v130                               // 000000008D00: 7F040B82
	v_cvt_f32_i32_e32 v131, v131                               // 000000008D04: 7F060B83
	v_mul_f32_dpp v128, v26, v128 row_newbcast:0 row_mask:0xf bank_mask:0xf// 000000008D08: 0B0100FA FF01501A
	v_mul_f32_dpp v129, v26, v129 row_newbcast:1 row_mask:0xf bank_mask:0xf// 000000008D10: 0B0302FA FF01511A
	v_mul_f32_dpp v130, v26, v130 row_newbcast:2 row_mask:0xf bank_mask:0xf// 000000008D18: 0B0504FA FF01521A
	v_mul_f32_dpp v131, v26, v131 row_newbcast:3 row_mask:0xf bank_mask:0xf// 000000008D20: 0B0706FA FF01531A
	v_cvt_f32_i32_e32 v132, v132                               // 000000008D28: 7F080B84
	v_cvt_f32_i32_e32 v133, v133                               // 000000008D2C: 7F0A0B85
	v_cvt_f32_i32_e32 v134, v134                               // 000000008D30: 7F0C0B86
	v_cvt_f32_i32_e32 v135, v135                               // 000000008D34: 7F0E0B87
	v_mul_f32_dpp v132, v26, v132 row_newbcast:0 row_mask:0xf bank_mask:0xf// 000000008D38: 0B0908FA FF01501A
	v_mul_f32_dpp v133, v26, v133 row_newbcast:1 row_mask:0xf bank_mask:0xf// 000000008D40: 0B0B0AFA FF01511A
	v_mul_f32_dpp v134, v26, v134 row_newbcast:2 row_mask:0xf bank_mask:0xf// 000000008D48: 0B0D0CFA FF01521A
	v_mul_f32_dpp v135, v26, v135 row_newbcast:3 row_mask:0xf bank_mask:0xf// 000000008D50: 0B0F0EFA FF01531A
	v_cvt_f32_i32_e32 v136, v136                               // 000000008D58: 7F100B88
	v_cvt_f32_i32_e32 v137, v137                               // 000000008D5C: 7F120B89
	v_cvt_f32_i32_e32 v138, v138                               // 000000008D60: 7F140B8A
	v_cvt_f32_i32_e32 v139, v139                               // 000000008D64: 7F160B8B
	v_mul_f32_dpp v136, v26, v136 row_newbcast:4 row_mask:0xf bank_mask:0xf// 000000008D68: 0B1110FA FF01541A
	v_mul_f32_dpp v137, v26, v137 row_newbcast:5 row_mask:0xf bank_mask:0xf// 000000008D70: 0B1312FA FF01551A
	v_mul_f32_dpp v138, v26, v138 row_newbcast:6 row_mask:0xf bank_mask:0xf// 000000008D78: 0B1514FA FF01561A
	v_mul_f32_dpp v139, v26, v139 row_newbcast:7 row_mask:0xf bank_mask:0xf// 000000008D80: 0B1716FA FF01571A
	v_cvt_f32_i32_e32 v140, v140                               // 000000008D88: 7F180B8C
	v_cvt_f32_i32_e32 v141, v141                               // 000000008D8C: 7F1A0B8D
	v_cvt_f32_i32_e32 v142, v142                               // 000000008D90: 7F1C0B8E
	v_cvt_f32_i32_e32 v143, v143                               // 000000008D94: 7F1E0B8F
	v_mul_f32_dpp v140, v26, v140 row_newbcast:4 row_mask:0xf bank_mask:0xf// 000000008D98: 0B1918FA FF01541A
	v_mul_f32_dpp v141, v26, v141 row_newbcast:5 row_mask:0xf bank_mask:0xf// 000000008DA0: 0B1B1AFA FF01551A
	v_mul_f32_dpp v142, v26, v142 row_newbcast:6 row_mask:0xf bank_mask:0xf// 000000008DA8: 0B1D1CFA FF01561A
	v_mul_f32_dpp v143, v26, v143 row_newbcast:7 row_mask:0xf bank_mask:0xf// 000000008DB0: 0B1F1EFA FF01571A
	v_cvt_f32_i32_e32 v144, v144                               // 000000008DB8: 7F200B90
	v_cvt_f32_i32_e32 v145, v145                               // 000000008DBC: 7F220B91
	v_cvt_f32_i32_e32 v146, v146                               // 000000008DC0: 7F240B92
	v_cvt_f32_i32_e32 v147, v147                               // 000000008DC4: 7F260B93
	v_mul_f32_dpp v144, v26, v144 row_newbcast:4 row_mask:0xf bank_mask:0xf// 000000008DC8: 0B2120FA FF01541A
	v_mul_f32_dpp v145, v26, v145 row_newbcast:5 row_mask:0xf bank_mask:0xf// 000000008DD0: 0B2322FA FF01551A
	v_mul_f32_dpp v146, v26, v146 row_newbcast:6 row_mask:0xf bank_mask:0xf// 000000008DD8: 0B2524FA FF01561A
	v_mul_f32_dpp v147, v26, v147 row_newbcast:7 row_mask:0xf bank_mask:0xf// 000000008DE0: 0B2726FA FF01571A
	v_cvt_f32_i32_e32 v148, v148                               // 000000008DE8: 7F280B94
	v_cvt_f32_i32_e32 v149, v149                               // 000000008DEC: 7F2A0B95
	v_cvt_f32_i32_e32 v150, v150                               // 000000008DF0: 7F2C0B96
	v_cvt_f32_i32_e32 v151, v151                               // 000000008DF4: 7F2E0B97
	v_mul_f32_dpp v148, v26, v148 row_newbcast:4 row_mask:0xf bank_mask:0xf// 000000008DF8: 0B2928FA FF01541A
	v_mul_f32_dpp v149, v26, v149 row_newbcast:5 row_mask:0xf bank_mask:0xf// 000000008E00: 0B2B2AFA FF01551A
	v_mul_f32_dpp v150, v26, v150 row_newbcast:6 row_mask:0xf bank_mask:0xf// 000000008E08: 0B2D2CFA FF01561A
	v_mul_f32_dpp v151, v26, v151 row_newbcast:7 row_mask:0xf bank_mask:0xf// 000000008E10: 0B2F2EFA FF01571A
	v_cvt_f32_i32_e32 v152, v152                               // 000000008E18: 7F300B98
	v_cvt_f32_i32_e32 v153, v153                               // 000000008E1C: 7F320B99
	v_cvt_f32_i32_e32 v154, v154                               // 000000008E20: 7F340B9A
	v_cvt_f32_i32_e32 v155, v155                               // 000000008E24: 7F360B9B
	v_mul_f32_dpp v152, v26, v152 row_newbcast:8 row_mask:0xf bank_mask:0xf// 000000008E28: 0B3130FA FF01581A
	v_mul_f32_dpp v153, v26, v153 row_newbcast:9 row_mask:0xf bank_mask:0xf// 000000008E30: 0B3332FA FF01591A
	v_mul_f32_dpp v154, v26, v154 row_newbcast:10 row_mask:0xf bank_mask:0xf// 000000008E38: 0B3534FA FF015A1A
	v_mul_f32_dpp v155, v26, v155 row_newbcast:11 row_mask:0xf bank_mask:0xf// 000000008E40: 0B3736FA FF015B1A
	v_cvt_f32_i32_e32 v156, v156                               // 000000008E48: 7F380B9C
	v_cvt_f32_i32_e32 v157, v157                               // 000000008E4C: 7F3A0B9D
	v_cvt_f32_i32_e32 v158, v158                               // 000000008E50: 7F3C0B9E
	v_cvt_f32_i32_e32 v159, v159                               // 000000008E54: 7F3E0B9F
	v_mul_f32_dpp v156, v26, v156 row_newbcast:8 row_mask:0xf bank_mask:0xf// 000000008E58: 0B3938FA FF01581A
	v_mul_f32_dpp v157, v26, v157 row_newbcast:9 row_mask:0xf bank_mask:0xf// 000000008E60: 0B3B3AFA FF01591A
	v_mul_f32_dpp v158, v26, v158 row_newbcast:10 row_mask:0xf bank_mask:0xf// 000000008E68: 0B3D3CFA FF015A1A
	v_mul_f32_dpp v159, v26, v159 row_newbcast:11 row_mask:0xf bank_mask:0xf// 000000008E70: 0B3F3EFA FF015B1A
	v_cvt_f32_i32_e32 v160, v160                               // 000000008E78: 7F400BA0
	v_cvt_f32_i32_e32 v161, v161                               // 000000008E7C: 7F420BA1
	v_cvt_f32_i32_e32 v162, v162                               // 000000008E80: 7F440BA2
	v_cvt_f32_i32_e32 v163, v163                               // 000000008E84: 7F460BA3
	v_mul_f32_dpp v160, v26, v160 row_newbcast:8 row_mask:0xf bank_mask:0xf// 000000008E88: 0B4140FA FF01581A
	v_mul_f32_dpp v161, v26, v161 row_newbcast:9 row_mask:0xf bank_mask:0xf// 000000008E90: 0B4342FA FF01591A
	v_mul_f32_dpp v162, v26, v162 row_newbcast:10 row_mask:0xf bank_mask:0xf// 000000008E98: 0B4544FA FF015A1A
	v_mul_f32_dpp v163, v26, v163 row_newbcast:11 row_mask:0xf bank_mask:0xf// 000000008EA0: 0B4746FA FF015B1A
	v_cvt_f32_i32_e32 v164, v164                               // 000000008EA8: 7F480BA4
	v_cvt_f32_i32_e32 v165, v165                               // 000000008EAC: 7F4A0BA5
	v_cvt_f32_i32_e32 v166, v166                               // 000000008EB0: 7F4C0BA6
	v_cvt_f32_i32_e32 v167, v167                               // 000000008EB4: 7F4E0BA7
	v_mul_f32_dpp v164, v26, v164 row_newbcast:8 row_mask:0xf bank_mask:0xf// 000000008EB8: 0B4948FA FF01581A
	v_mul_f32_dpp v165, v26, v165 row_newbcast:9 row_mask:0xf bank_mask:0xf// 000000008EC0: 0B4B4AFA FF01591A
	v_mul_f32_dpp v166, v26, v166 row_newbcast:10 row_mask:0xf bank_mask:0xf// 000000008EC8: 0B4D4CFA FF015A1A
	v_mul_f32_dpp v167, v26, v167 row_newbcast:11 row_mask:0xf bank_mask:0xf// 000000008ED0: 0B4F4EFA FF015B1A
	v_cvt_f32_i32_e32 v168, v168                               // 000000008ED8: 7F500BA8
	v_cvt_f32_i32_e32 v169, v169                               // 000000008EDC: 7F520BA9
	v_cvt_f32_i32_e32 v170, v170                               // 000000008EE0: 7F540BAA
	v_cvt_f32_i32_e32 v171, v171                               // 000000008EE4: 7F560BAB
	v_mul_f32_dpp v168, v26, v168 row_newbcast:12 row_mask:0xf bank_mask:0xf// 000000008EE8: 0B5150FA FF015C1A
	v_mul_f32_dpp v169, v26, v169 row_newbcast:13 row_mask:0xf bank_mask:0xf// 000000008EF0: 0B5352FA FF015D1A
	v_mul_f32_dpp v170, v26, v170 row_newbcast:14 row_mask:0xf bank_mask:0xf// 000000008EF8: 0B5554FA FF015E1A
	v_mul_f32_dpp v171, v26, v171 row_newbcast:15 row_mask:0xf bank_mask:0xf// 000000008F00: 0B5756FA FF015F1A
	v_cvt_f32_i32_e32 v172, v172                               // 000000008F08: 7F580BAC
	v_cvt_f32_i32_e32 v173, v173                               // 000000008F0C: 7F5A0BAD
	v_cvt_f32_i32_e32 v174, v174                               // 000000008F10: 7F5C0BAE
	v_cvt_f32_i32_e32 v175, v175                               // 000000008F14: 7F5E0BAF
	v_mul_f32_dpp v172, v26, v172 row_newbcast:12 row_mask:0xf bank_mask:0xf// 000000008F18: 0B5958FA FF015C1A
	v_mul_f32_dpp v173, v26, v173 row_newbcast:13 row_mask:0xf bank_mask:0xf// 000000008F20: 0B5B5AFA FF015D1A
	v_mul_f32_dpp v174, v26, v174 row_newbcast:14 row_mask:0xf bank_mask:0xf// 000000008F28: 0B5D5CFA FF015E1A
	v_mul_f32_dpp v175, v26, v175 row_newbcast:15 row_mask:0xf bank_mask:0xf// 000000008F30: 0B5F5EFA FF015F1A
	v_cvt_f32_i32_e32 v176, v176                               // 000000008F38: 7F600BB0
	v_cvt_f32_i32_e32 v177, v177                               // 000000008F3C: 7F620BB1
	v_cvt_f32_i32_e32 v178, v178                               // 000000008F40: 7F640BB2
	v_cvt_f32_i32_e32 v179, v179                               // 000000008F44: 7F660BB3
	v_mul_f32_dpp v176, v26, v176 row_newbcast:12 row_mask:0xf bank_mask:0xf// 000000008F48: 0B6160FA FF015C1A
	v_mul_f32_dpp v177, v26, v177 row_newbcast:13 row_mask:0xf bank_mask:0xf// 000000008F50: 0B6362FA FF015D1A
	v_mul_f32_dpp v178, v26, v178 row_newbcast:14 row_mask:0xf bank_mask:0xf// 000000008F58: 0B6564FA FF015E1A
	v_mul_f32_dpp v179, v26, v179 row_newbcast:15 row_mask:0xf bank_mask:0xf// 000000008F60: 0B6766FA FF015F1A
	v_cvt_f32_i32_e32 v180, v180                               // 000000008F68: 7F680BB4
	v_cvt_f32_i32_e32 v181, v181                               // 000000008F6C: 7F6A0BB5
	v_cvt_f32_i32_e32 v182, v182                               // 000000008F70: 7F6C0BB6
	v_cvt_f32_i32_e32 v183, v183                               // 000000008F74: 7F6E0BB7
	v_mul_f32_dpp v180, v26, v180 row_newbcast:12 row_mask:0xf bank_mask:0xf// 000000008F78: 0B6968FA FF015C1A
	v_mul_f32_dpp v181, v26, v181 row_newbcast:13 row_mask:0xf bank_mask:0xf// 000000008F80: 0B6B6AFA FF015D1A
	v_mul_f32_dpp v182, v26, v182 row_newbcast:14 row_mask:0xf bank_mask:0xf// 000000008F88: 0B6D6CFA FF015E1A
	v_mul_f32_dpp v183, v26, v183 row_newbcast:15 row_mask:0xf bank_mask:0xf// 000000008F90: 0B6F6EFA FF015F1A
	v_mov_b32_e32 v4, v32                                      // 000000008F98: 7E080320
	v_mov_b32_e32 v5, v4                                       // 000000008F9C: 7E0A0304
	v_pk_mul_f32 v[56:57], v[4:5], v[56:57]                    // 000000008FA0: D3B14038 18027104
	v_pk_mul_f32 v[120:121], v[4:5], v[120:121]                // 000000008FA8: D3B14078 1802F104
	v_pk_mul_f32 v[58:59], v[4:5], v[58:59]                    // 000000008FB0: D3B1403A 18027504
	v_pk_mul_f32 v[122:123], v[4:5], v[122:123]                // 000000008FB8: D3B1407A 1802F504
	v_pk_mul_f32 v[72:73], v[4:5], v[72:73]                    // 000000008FC0: D3B14048 18029104
	v_pk_mul_f32 v[136:137], v[4:5], v[136:137]                // 000000008FC8: D3B14088 18031104
	v_pk_mul_f32 v[74:75], v[4:5], v[74:75]                    // 000000008FD0: D3B1404A 18029504
	v_pk_mul_f32 v[138:139], v[4:5], v[138:139]                // 000000008FD8: D3B1408A 18031504
	v_pk_mul_f32 v[88:89], v[4:5], v[88:89]                    // 000000008FE0: D3B14058 1802B104
	v_pk_mul_f32 v[152:153], v[4:5], v[152:153]                // 000000008FE8: D3B14098 18033104
	v_pk_mul_f32 v[90:91], v[4:5], v[90:91]                    // 000000008FF0: D3B1405A 1802B504
	v_pk_mul_f32 v[154:155], v[4:5], v[154:155]                // 000000008FF8: D3B1409A 18033504
	v_pk_mul_f32 v[104:105], v[4:5], v[104:105]                // 000000009000: D3B14068 1802D104
	v_pk_mul_f32 v[168:169], v[4:5], v[168:169]                // 000000009008: D3B140A8 18035104
	v_pk_mul_f32 v[106:107], v[4:5], v[106:107]                // 000000009010: D3B1406A 1802D504
	v_pk_mul_f32 v[170:171], v[4:5], v[170:171]                // 000000009018: D3B140AA 18035504
	v_mov_b32_e32 v4, v33                                      // 000000009020: 7E080321
	v_mov_b32_e32 v5, v4                                       // 000000009024: 7E0A0304
	v_pk_mul_f32 v[60:61], v[4:5], v[60:61]                    // 000000009028: D3B1403C 18027904
	v_pk_mul_f32 v[124:125], v[4:5], v[124:125]                // 000000009030: D3B1407C 1802F904
	v_pk_mul_f32 v[62:63], v[4:5], v[62:63]                    // 000000009038: D3B1403E 18027D04
	v_pk_mul_f32 v[126:127], v[4:5], v[126:127]                // 000000009040: D3B1407E 1802FD04
	v_pk_mul_f32 v[76:77], v[4:5], v[76:77]                    // 000000009048: D3B1404C 18029904
	v_pk_mul_f32 v[140:141], v[4:5], v[140:141]                // 000000009050: D3B1408C 18031904
	v_pk_mul_f32 v[78:79], v[4:5], v[78:79]                    // 000000009058: D3B1404E 18029D04
	v_pk_mul_f32 v[142:143], v[4:5], v[142:143]                // 000000009060: D3B1408E 18031D04
	v_pk_mul_f32 v[92:93], v[4:5], v[92:93]                    // 000000009068: D3B1405C 1802B904
	v_pk_mul_f32 v[156:157], v[4:5], v[156:157]                // 000000009070: D3B1409C 18033904
	v_pk_mul_f32 v[94:95], v[4:5], v[94:95]                    // 000000009078: D3B1405E 1802BD04
	v_pk_mul_f32 v[158:159], v[4:5], v[158:159]                // 000000009080: D3B1409E 18033D04
	v_pk_mul_f32 v[108:109], v[4:5], v[108:109]                // 000000009088: D3B1406C 1802D904
	v_pk_mul_f32 v[172:173], v[4:5], v[172:173]                // 000000009090: D3B140AC 18035904
	v_pk_mul_f32 v[110:111], v[4:5], v[110:111]                // 000000009098: D3B1406E 1802DD04
	v_pk_mul_f32 v[174:175], v[4:5], v[174:175]                // 0000000090A0: D3B140AE 18035D04
	v_mov_b32_e32 v4, v34                                      // 0000000090A8: 7E080322
	v_mov_b32_e32 v5, v4                                       // 0000000090AC: 7E0A0304
	v_pk_mul_f32 v[64:65], v[4:5], v[64:65]                    // 0000000090B0: D3B14040 18028104
	v_pk_mul_f32 v[128:129], v[4:5], v[128:129]                // 0000000090B8: D3B14080 18030104
	v_pk_mul_f32 v[66:67], v[4:5], v[66:67]                    // 0000000090C0: D3B14042 18028504
	v_pk_mul_f32 v[130:131], v[4:5], v[130:131]                // 0000000090C8: D3B14082 18030504
	v_pk_mul_f32 v[80:81], v[4:5], v[80:81]                    // 0000000090D0: D3B14050 1802A104
	v_pk_mul_f32 v[144:145], v[4:5], v[144:145]                // 0000000090D8: D3B14090 18032104
	v_pk_mul_f32 v[82:83], v[4:5], v[82:83]                    // 0000000090E0: D3B14052 1802A504
	v_pk_mul_f32 v[146:147], v[4:5], v[146:147]                // 0000000090E8: D3B14092 18032504
	v_pk_mul_f32 v[96:97], v[4:5], v[96:97]                    // 0000000090F0: D3B14060 1802C104
	v_pk_mul_f32 v[160:161], v[4:5], v[160:161]                // 0000000090F8: D3B140A0 18034104
	v_pk_mul_f32 v[98:99], v[4:5], v[98:99]                    // 000000009100: D3B14062 1802C504
	v_pk_mul_f32 v[162:163], v[4:5], v[162:163]                // 000000009108: D3B140A2 18034504
	v_pk_mul_f32 v[112:113], v[4:5], v[112:113]                // 000000009110: D3B14070 1802E104
	v_pk_mul_f32 v[176:177], v[4:5], v[176:177]                // 000000009118: D3B140B0 18036104
	v_pk_mul_f32 v[114:115], v[4:5], v[114:115]                // 000000009120: D3B14072 1802E504
	v_pk_mul_f32 v[178:179], v[4:5], v[178:179]                // 000000009128: D3B140B2 18036504
	v_mov_b32_e32 v4, v35                                      // 000000009130: 7E080323
	v_mov_b32_e32 v5, v4                                       // 000000009134: 7E0A0304
	v_pk_mul_f32 v[68:69], v[4:5], v[68:69]                    // 000000009138: D3B14044 18028904
	v_pk_mul_f32 v[132:133], v[4:5], v[132:133]                // 000000009140: D3B14084 18030904
	v_pk_mul_f32 v[70:71], v[4:5], v[70:71]                    // 000000009148: D3B14046 18028D04
	v_pk_mul_f32 v[134:135], v[4:5], v[134:135]                // 000000009150: D3B14086 18030D04
	v_pk_mul_f32 v[84:85], v[4:5], v[84:85]                    // 000000009158: D3B14054 1802A904
	v_pk_mul_f32 v[148:149], v[4:5], v[148:149]                // 000000009160: D3B14094 18032904
	v_pk_mul_f32 v[86:87], v[4:5], v[86:87]                    // 000000009168: D3B14056 1802AD04
	v_pk_mul_f32 v[150:151], v[4:5], v[150:151]                // 000000009170: D3B14096 18032D04
	v_pk_mul_f32 v[100:101], v[4:5], v[100:101]                // 000000009178: D3B14064 1802C904
	v_pk_mul_f32 v[164:165], v[4:5], v[164:165]                // 000000009180: D3B140A4 18034904
	v_pk_mul_f32 v[102:103], v[4:5], v[102:103]                // 000000009188: D3B14066 1802CD04
	v_pk_mul_f32 v[166:167], v[4:5], v[166:167]                // 000000009190: D3B140A6 18034D04
	v_pk_mul_f32 v[116:117], v[4:5], v[116:117]                // 000000009198: D3B14074 1802E904
	v_pk_mul_f32 v[180:181], v[4:5], v[180:181]                // 0000000091A0: D3B140B4 18036904
	v_pk_mul_f32 v[118:119], v[4:5], v[118:119]                // 0000000091A8: D3B14076 1802ED04
	v_pk_mul_f32 v[182:183], v[4:5], v[182:183]                // 0000000091B0: D3B140B6 18036D04
	s_cmp_eq_u32 s88, 0                                        // 0000000091B8: BF068058
	s_cbranch_scc0 label_2224                                  // 0000000091BC: BF840831
	s_cmp_eq_u32 s89, 0                                        // 0000000091C0: BF068059
	s_cbranch_scc1 label_1C7A                                  // 0000000091C4: BF850285
	v_mov_b32_e32 v8, v1                                       // 0000000091C8: 7E100301
	v_mov_b32_e32 v9, v1                                       // 0000000091CC: 7E120301
	s_mov_b32 s60, s6                                          // 0000000091D0: BEBC0006
	s_mov_b32 s61, s6                                          // 0000000091D4: BEBD0006
	v_pk_mul_f32 v[4:5], v[56:57], v[56:57]                    // 0000000091D8: D3B14004 18027138
	v_pk_mul_f32 v[6:7], v[58:59], v[58:59]                    // 0000000091E0: D3B14006 1802753A
	v_pk_fma_f32 v[4:5], v[4:5], s[78:79], v[8:9]              // 0000000091E8: D3B04004 1C209D04
	v_pk_fma_f32 v[6:7], v[6:7], s[78:79], v[8:9]              // 0000000091F0: D3B04006 1C209D06
	v_pk_mul_f32 v[4:5], v[4:5], v[56:57]                      // 0000000091F8: D3B14004 18027104
	v_pk_mul_f32 v[6:7], v[6:7], v[58:59]                      // 000000009200: D3B14006 18027506
	v_pk_mul_f32 v[4:5], v[4:5], s[60:61]                      // 000000009208: D3B14004 18007904
	v_pk_mul_f32 v[6:7], v[6:7], s[60:61]                      // 000000009210: D3B14006 18007906
	v_exp_f32_e32 v4, v4                                       // 000000009218: 7E084104
	v_exp_f32_e32 v5, v5                                       // 00000000921C: 7E0A4105
	v_exp_f32_e32 v6, v6                                       // 000000009220: 7E0C4106
	v_exp_f32_e32 v7, v7                                       // 000000009224: 7E0E4107
	v_add_f32_e64 v4, v4, 1.0                                  // 000000009228: D1010004 0001E504
	v_add_f32_e64 v5, v5, 1.0                                  // 000000009230: D1010005 0001E505
	v_add_f32_e64 v6, v6, 1.0                                  // 000000009238: D1010006 0001E506
	v_add_f32_e64 v7, v7, 1.0                                  // 000000009240: D1010007 0001E507
	v_rcp_f32_e32 v4, v4                                       // 000000009248: 7E084504
	v_rcp_f32_e32 v5, v5                                       // 00000000924C: 7E0A4505
	v_rcp_f32_e32 v6, v6                                       // 000000009250: 7E0C4506
	v_rcp_f32_e32 v7, v7                                       // 000000009254: 7E0E4507
	v_mul_f32_e32 v56, v56, v4                                 // 000000009258: 0A700938
	v_mul_f32_e32 v57, v57, v5                                 // 00000000925C: 0A720B39
	v_mul_f32_e32 v58, v58, v6                                 // 000000009260: 0A740D3A
	v_mul_f32_e32 v59, v59, v7                                 // 000000009264: 0A760F3B
	v_mul_f32_e32 v56, v56, v120                               // 000000009268: 0A70F138
	v_mul_f32_e32 v57, v57, v121                               // 00000000926C: 0A72F339
	v_mul_f32_e32 v58, v58, v122                               // 000000009270: 0A74F53A
	v_mul_f32_e32 v59, v59, v123                               // 000000009274: 0A76F73B
	v_pk_mul_f32 v[4:5], v[60:61], v[60:61]                    // 000000009278: D3B14004 1802793C
	v_pk_mul_f32 v[6:7], v[62:63], v[62:63]                    // 000000009280: D3B14006 18027D3E
	v_pk_fma_f32 v[4:5], v[4:5], s[78:79], v[8:9]              // 000000009288: D3B04004 1C209D04
	v_pk_fma_f32 v[6:7], v[6:7], s[78:79], v[8:9]              // 000000009290: D3B04006 1C209D06
	v_pk_mul_f32 v[4:5], v[4:5], v[60:61]                      // 000000009298: D3B14004 18027904
	v_pk_mul_f32 v[6:7], v[6:7], v[62:63]                      // 0000000092A0: D3B14006 18027D06
	v_pk_mul_f32 v[4:5], v[4:5], s[60:61]                      // 0000000092A8: D3B14004 18007904
	v_pk_mul_f32 v[6:7], v[6:7], s[60:61]                      // 0000000092B0: D3B14006 18007906
	v_exp_f32_e32 v4, v4                                       // 0000000092B8: 7E084104
	v_exp_f32_e32 v5, v5                                       // 0000000092BC: 7E0A4105
	v_exp_f32_e32 v6, v6                                       // 0000000092C0: 7E0C4106
	v_exp_f32_e32 v7, v7                                       // 0000000092C4: 7E0E4107
	v_add_f32_e64 v4, v4, 1.0                                  // 0000000092C8: D1010004 0001E504
	v_add_f32_e64 v5, v5, 1.0                                  // 0000000092D0: D1010005 0001E505
	v_add_f32_e64 v6, v6, 1.0                                  // 0000000092D8: D1010006 0001E506
	v_add_f32_e64 v7, v7, 1.0                                  // 0000000092E0: D1010007 0001E507
	v_rcp_f32_e32 v4, v4                                       // 0000000092E8: 7E084504
	v_rcp_f32_e32 v5, v5                                       // 0000000092EC: 7E0A4505
	v_rcp_f32_e32 v6, v6                                       // 0000000092F0: 7E0C4506
	v_rcp_f32_e32 v7, v7                                       // 0000000092F4: 7E0E4507
	v_mul_f32_e32 v60, v60, v4                                 // 0000000092F8: 0A78093C
	v_mul_f32_e32 v61, v61, v5                                 // 0000000092FC: 0A7A0B3D
	v_mul_f32_e32 v62, v62, v6                                 // 000000009300: 0A7C0D3E
	v_mul_f32_e32 v63, v63, v7                                 // 000000009304: 0A7E0F3F
	v_mul_f32_e32 v60, v60, v124                               // 000000009308: 0A78F93C
	v_mul_f32_e32 v61, v61, v125                               // 00000000930C: 0A7AFB3D
	v_mul_f32_e32 v62, v62, v126                               // 000000009310: 0A7CFD3E
	v_mul_f32_e32 v63, v63, v127                               // 000000009314: 0A7EFF3F
	v_pk_mul_f32 v[4:5], v[64:65], v[64:65]                    // 000000009318: D3B14004 18028140
	v_pk_mul_f32 v[6:7], v[66:67], v[66:67]                    // 000000009320: D3B14006 18028542
	v_pk_fma_f32 v[4:5], v[4:5], s[78:79], v[8:9]              // 000000009328: D3B04004 1C209D04
	v_pk_fma_f32 v[6:7], v[6:7], s[78:79], v[8:9]              // 000000009330: D3B04006 1C209D06
	v_pk_mul_f32 v[4:5], v[4:5], v[64:65]                      // 000000009338: D3B14004 18028104
	v_pk_mul_f32 v[6:7], v[6:7], v[66:67]                      // 000000009340: D3B14006 18028506
	v_pk_mul_f32 v[4:5], v[4:5], s[60:61]                      // 000000009348: D3B14004 18007904
	v_pk_mul_f32 v[6:7], v[6:7], s[60:61]                      // 000000009350: D3B14006 18007906
	v_exp_f32_e32 v4, v4                                       // 000000009358: 7E084104
	v_exp_f32_e32 v5, v5                                       // 00000000935C: 7E0A4105
	v_exp_f32_e32 v6, v6                                       // 000000009360: 7E0C4106
	v_exp_f32_e32 v7, v7                                       // 000000009364: 7E0E4107
	v_add_f32_e64 v4, v4, 1.0                                  // 000000009368: D1010004 0001E504
	v_add_f32_e64 v5, v5, 1.0                                  // 000000009370: D1010005 0001E505
	v_add_f32_e64 v6, v6, 1.0                                  // 000000009378: D1010006 0001E506
	v_add_f32_e64 v7, v7, 1.0                                  // 000000009380: D1010007 0001E507
	v_rcp_f32_e32 v4, v4                                       // 000000009388: 7E084504
	v_rcp_f32_e32 v5, v5                                       // 00000000938C: 7E0A4505
	v_rcp_f32_e32 v6, v6                                       // 000000009390: 7E0C4506
	v_rcp_f32_e32 v7, v7                                       // 000000009394: 7E0E4507
	v_mul_f32_e32 v64, v64, v4                                 // 000000009398: 0A800940
	v_mul_f32_e32 v65, v65, v5                                 // 00000000939C: 0A820B41
	v_mul_f32_e32 v66, v66, v6                                 // 0000000093A0: 0A840D42
	v_mul_f32_e32 v67, v67, v7                                 // 0000000093A4: 0A860F43
	v_mul_f32_e32 v64, v64, v128                               // 0000000093A8: 0A810140
	v_mul_f32_e32 v65, v65, v129                               // 0000000093AC: 0A830341
	v_mul_f32_e32 v66, v66, v130                               // 0000000093B0: 0A850542
	v_mul_f32_e32 v67, v67, v131                               // 0000000093B4: 0A870743
	v_pk_mul_f32 v[4:5], v[68:69], v[68:69]                    // 0000000093B8: D3B14004 18028944
	v_pk_mul_f32 v[6:7], v[70:71], v[70:71]                    // 0000000093C0: D3B14006 18028D46
	v_pk_fma_f32 v[4:5], v[4:5], s[78:79], v[8:9]              // 0000000093C8: D3B04004 1C209D04
	v_pk_fma_f32 v[6:7], v[6:7], s[78:79], v[8:9]              // 0000000093D0: D3B04006 1C209D06
	v_pk_mul_f32 v[4:5], v[4:5], v[68:69]                      // 0000000093D8: D3B14004 18028904
	v_pk_mul_f32 v[6:7], v[6:7], v[70:71]                      // 0000000093E0: D3B14006 18028D06
	v_pk_mul_f32 v[4:5], v[4:5], s[60:61]                      // 0000000093E8: D3B14004 18007904
	v_pk_mul_f32 v[6:7], v[6:7], s[60:61]                      // 0000000093F0: D3B14006 18007906
	v_exp_f32_e32 v4, v4                                       // 0000000093F8: 7E084104
	v_exp_f32_e32 v5, v5                                       // 0000000093FC: 7E0A4105
	v_exp_f32_e32 v6, v6                                       // 000000009400: 7E0C4106
	v_exp_f32_e32 v7, v7                                       // 000000009404: 7E0E4107
	v_add_f32_e64 v4, v4, 1.0                                  // 000000009408: D1010004 0001E504
	v_add_f32_e64 v5, v5, 1.0                                  // 000000009410: D1010005 0001E505
	v_add_f32_e64 v6, v6, 1.0                                  // 000000009418: D1010006 0001E506
	v_add_f32_e64 v7, v7, 1.0                                  // 000000009420: D1010007 0001E507
	v_rcp_f32_e32 v4, v4                                       // 000000009428: 7E084504
	v_rcp_f32_e32 v5, v5                                       // 00000000942C: 7E0A4505
	v_rcp_f32_e32 v6, v6                                       // 000000009430: 7E0C4506
	v_rcp_f32_e32 v7, v7                                       // 000000009434: 7E0E4507
	v_mul_f32_e32 v68, v68, v4                                 // 000000009438: 0A880944
	v_mul_f32_e32 v69, v69, v5                                 // 00000000943C: 0A8A0B45
	v_mul_f32_e32 v70, v70, v6                                 // 000000009440: 0A8C0D46
	v_mul_f32_e32 v71, v71, v7                                 // 000000009444: 0A8E0F47
	v_mul_f32_e32 v68, v68, v132                               // 000000009448: 0A890944
	v_mul_f32_e32 v69, v69, v133                               // 00000000944C: 0A8B0B45
	v_mul_f32_e32 v70, v70, v134                               // 000000009450: 0A8D0D46
	v_mul_f32_e32 v71, v71, v135                               // 000000009454: 0A8F0F47
	v_pk_mul_f32 v[4:5], v[72:73], v[72:73]                    // 000000009458: D3B14004 18029148
	v_pk_mul_f32 v[6:7], v[74:75], v[74:75]                    // 000000009460: D3B14006 1802954A
	v_pk_fma_f32 v[4:5], v[4:5], s[78:79], v[8:9]              // 000000009468: D3B04004 1C209D04
	v_pk_fma_f32 v[6:7], v[6:7], s[78:79], v[8:9]              // 000000009470: D3B04006 1C209D06
	v_pk_mul_f32 v[4:5], v[4:5], v[72:73]                      // 000000009478: D3B14004 18029104
	v_pk_mul_f32 v[6:7], v[6:7], v[74:75]                      // 000000009480: D3B14006 18029506
	v_pk_mul_f32 v[4:5], v[4:5], s[60:61]                      // 000000009488: D3B14004 18007904
	v_pk_mul_f32 v[6:7], v[6:7], s[60:61]                      // 000000009490: D3B14006 18007906
	v_exp_f32_e32 v4, v4                                       // 000000009498: 7E084104
	v_exp_f32_e32 v5, v5                                       // 00000000949C: 7E0A4105
	v_exp_f32_e32 v6, v6                                       // 0000000094A0: 7E0C4106
	v_exp_f32_e32 v7, v7                                       // 0000000094A4: 7E0E4107
	v_add_f32_e64 v4, v4, 1.0                                  // 0000000094A8: D1010004 0001E504
	v_add_f32_e64 v5, v5, 1.0                                  // 0000000094B0: D1010005 0001E505
	v_add_f32_e64 v6, v6, 1.0                                  // 0000000094B8: D1010006 0001E506
	v_add_f32_e64 v7, v7, 1.0                                  // 0000000094C0: D1010007 0001E507
	v_rcp_f32_e32 v4, v4                                       // 0000000094C8: 7E084504
	v_rcp_f32_e32 v5, v5                                       // 0000000094CC: 7E0A4505
	v_rcp_f32_e32 v6, v6                                       // 0000000094D0: 7E0C4506
	v_rcp_f32_e32 v7, v7                                       // 0000000094D4: 7E0E4507
	v_mul_f32_e32 v72, v72, v4                                 // 0000000094D8: 0A900948
	v_mul_f32_e32 v73, v73, v5                                 // 0000000094DC: 0A920B49
	v_mul_f32_e32 v74, v74, v6                                 // 0000000094E0: 0A940D4A
	v_mul_f32_e32 v75, v75, v7                                 // 0000000094E4: 0A960F4B
	v_mul_f32_e32 v72, v72, v136                               // 0000000094E8: 0A911148
	v_mul_f32_e32 v73, v73, v137                               // 0000000094EC: 0A931349
	v_mul_f32_e32 v74, v74, v138                               // 0000000094F0: 0A95154A
	v_mul_f32_e32 v75, v75, v139                               // 0000000094F4: 0A97174B
	v_pk_mul_f32 v[4:5], v[76:77], v[76:77]                    // 0000000094F8: D3B14004 1802994C
	v_pk_mul_f32 v[6:7], v[78:79], v[78:79]                    // 000000009500: D3B14006 18029D4E
	v_pk_fma_f32 v[4:5], v[4:5], s[78:79], v[8:9]              // 000000009508: D3B04004 1C209D04
	v_pk_fma_f32 v[6:7], v[6:7], s[78:79], v[8:9]              // 000000009510: D3B04006 1C209D06
	v_pk_mul_f32 v[4:5], v[4:5], v[76:77]                      // 000000009518: D3B14004 18029904
	v_pk_mul_f32 v[6:7], v[6:7], v[78:79]                      // 000000009520: D3B14006 18029D06
	v_pk_mul_f32 v[4:5], v[4:5], s[60:61]                      // 000000009528: D3B14004 18007904
	v_pk_mul_f32 v[6:7], v[6:7], s[60:61]                      // 000000009530: D3B14006 18007906
	v_exp_f32_e32 v4, v4                                       // 000000009538: 7E084104
	v_exp_f32_e32 v5, v5                                       // 00000000953C: 7E0A4105
	v_exp_f32_e32 v6, v6                                       // 000000009540: 7E0C4106
	v_exp_f32_e32 v7, v7                                       // 000000009544: 7E0E4107
	v_add_f32_e64 v4, v4, 1.0                                  // 000000009548: D1010004 0001E504
	v_add_f32_e64 v5, v5, 1.0                                  // 000000009550: D1010005 0001E505
	v_add_f32_e64 v6, v6, 1.0                                  // 000000009558: D1010006 0001E506
	v_add_f32_e64 v7, v7, 1.0                                  // 000000009560: D1010007 0001E507
	v_rcp_f32_e32 v4, v4                                       // 000000009568: 7E084504
	v_rcp_f32_e32 v5, v5                                       // 00000000956C: 7E0A4505
	v_rcp_f32_e32 v6, v6                                       // 000000009570: 7E0C4506
	v_rcp_f32_e32 v7, v7                                       // 000000009574: 7E0E4507
	v_mul_f32_e32 v76, v76, v4                                 // 000000009578: 0A98094C
	v_mul_f32_e32 v77, v77, v5                                 // 00000000957C: 0A9A0B4D
	v_mul_f32_e32 v78, v78, v6                                 // 000000009580: 0A9C0D4E
	v_mul_f32_e32 v79, v79, v7                                 // 000000009584: 0A9E0F4F
	v_mul_f32_e32 v76, v76, v140                               // 000000009588: 0A99194C
	v_mul_f32_e32 v77, v77, v141                               // 00000000958C: 0A9B1B4D
	v_mul_f32_e32 v78, v78, v142                               // 000000009590: 0A9D1D4E
	v_mul_f32_e32 v79, v79, v143                               // 000000009594: 0A9F1F4F
	v_pk_mul_f32 v[4:5], v[80:81], v[80:81]                    // 000000009598: D3B14004 1802A150
	v_pk_mul_f32 v[6:7], v[82:83], v[82:83]                    // 0000000095A0: D3B14006 1802A552
	v_pk_fma_f32 v[4:5], v[4:5], s[78:79], v[8:9]              // 0000000095A8: D3B04004 1C209D04
	v_pk_fma_f32 v[6:7], v[6:7], s[78:79], v[8:9]              // 0000000095B0: D3B04006 1C209D06
	v_pk_mul_f32 v[4:5], v[4:5], v[80:81]                      // 0000000095B8: D3B14004 1802A104
	v_pk_mul_f32 v[6:7], v[6:7], v[82:83]                      // 0000000095C0: D3B14006 1802A506
	v_pk_mul_f32 v[4:5], v[4:5], s[60:61]                      // 0000000095C8: D3B14004 18007904
	v_pk_mul_f32 v[6:7], v[6:7], s[60:61]                      // 0000000095D0: D3B14006 18007906
	v_exp_f32_e32 v4, v4                                       // 0000000095D8: 7E084104
	v_exp_f32_e32 v5, v5                                       // 0000000095DC: 7E0A4105
	v_exp_f32_e32 v6, v6                                       // 0000000095E0: 7E0C4106
	v_exp_f32_e32 v7, v7                                       // 0000000095E4: 7E0E4107
	v_add_f32_e64 v4, v4, 1.0                                  // 0000000095E8: D1010004 0001E504
	v_add_f32_e64 v5, v5, 1.0                                  // 0000000095F0: D1010005 0001E505
	v_add_f32_e64 v6, v6, 1.0                                  // 0000000095F8: D1010006 0001E506
	v_add_f32_e64 v7, v7, 1.0                                  // 000000009600: D1010007 0001E507
	v_rcp_f32_e32 v4, v4                                       // 000000009608: 7E084504
	v_rcp_f32_e32 v5, v5                                       // 00000000960C: 7E0A4505
	v_rcp_f32_e32 v6, v6                                       // 000000009610: 7E0C4506
	v_rcp_f32_e32 v7, v7                                       // 000000009614: 7E0E4507
	v_mul_f32_e32 v80, v80, v4                                 // 000000009618: 0AA00950
	v_mul_f32_e32 v81, v81, v5                                 // 00000000961C: 0AA20B51
	v_mul_f32_e32 v82, v82, v6                                 // 000000009620: 0AA40D52
	v_mul_f32_e32 v83, v83, v7                                 // 000000009624: 0AA60F53
	v_mul_f32_e32 v80, v80, v144                               // 000000009628: 0AA12150
	v_mul_f32_e32 v81, v81, v145                               // 00000000962C: 0AA32351
	v_mul_f32_e32 v82, v82, v146                               // 000000009630: 0AA52552
	v_mul_f32_e32 v83, v83, v147                               // 000000009634: 0AA72753
	v_pk_mul_f32 v[4:5], v[84:85], v[84:85]                    // 000000009638: D3B14004 1802A954
	v_pk_mul_f32 v[6:7], v[86:87], v[86:87]                    // 000000009640: D3B14006 1802AD56
	v_pk_fma_f32 v[4:5], v[4:5], s[78:79], v[8:9]              // 000000009648: D3B04004 1C209D04
	v_pk_fma_f32 v[6:7], v[6:7], s[78:79], v[8:9]              // 000000009650: D3B04006 1C209D06
	v_pk_mul_f32 v[4:5], v[4:5], v[84:85]                      // 000000009658: D3B14004 1802A904
	v_pk_mul_f32 v[6:7], v[6:7], v[86:87]                      // 000000009660: D3B14006 1802AD06
	v_pk_mul_f32 v[4:5], v[4:5], s[60:61]                      // 000000009668: D3B14004 18007904
	v_pk_mul_f32 v[6:7], v[6:7], s[60:61]                      // 000000009670: D3B14006 18007906
	v_exp_f32_e32 v4, v4                                       // 000000009678: 7E084104
	v_exp_f32_e32 v5, v5                                       // 00000000967C: 7E0A4105
	v_exp_f32_e32 v6, v6                                       // 000000009680: 7E0C4106
	v_exp_f32_e32 v7, v7                                       // 000000009684: 7E0E4107
	v_add_f32_e64 v4, v4, 1.0                                  // 000000009688: D1010004 0001E504
	v_add_f32_e64 v5, v5, 1.0                                  // 000000009690: D1010005 0001E505
	v_add_f32_e64 v6, v6, 1.0                                  // 000000009698: D1010006 0001E506
	v_add_f32_e64 v7, v7, 1.0                                  // 0000000096A0: D1010007 0001E507
	v_rcp_f32_e32 v4, v4                                       // 0000000096A8: 7E084504
	v_rcp_f32_e32 v5, v5                                       // 0000000096AC: 7E0A4505
	v_rcp_f32_e32 v6, v6                                       // 0000000096B0: 7E0C4506
	v_rcp_f32_e32 v7, v7                                       // 0000000096B4: 7E0E4507
	v_mul_f32_e32 v84, v84, v4                                 // 0000000096B8: 0AA80954
	v_mul_f32_e32 v85, v85, v5                                 // 0000000096BC: 0AAA0B55
	v_mul_f32_e32 v86, v86, v6                                 // 0000000096C0: 0AAC0D56
	v_mul_f32_e32 v87, v87, v7                                 // 0000000096C4: 0AAE0F57
	v_mul_f32_e32 v84, v84, v148                               // 0000000096C8: 0AA92954
	v_mul_f32_e32 v85, v85, v149                               // 0000000096CC: 0AAB2B55
	v_mul_f32_e32 v86, v86, v150                               // 0000000096D0: 0AAD2D56
	v_mul_f32_e32 v87, v87, v151                               // 0000000096D4: 0AAF2F57
	v_pk_mul_f32 v[4:5], v[88:89], v[88:89]                    // 0000000096D8: D3B14004 1802B158
	v_pk_mul_f32 v[6:7], v[90:91], v[90:91]                    // 0000000096E0: D3B14006 1802B55A
	v_pk_fma_f32 v[4:5], v[4:5], s[78:79], v[8:9]              // 0000000096E8: D3B04004 1C209D04
	v_pk_fma_f32 v[6:7], v[6:7], s[78:79], v[8:9]              // 0000000096F0: D3B04006 1C209D06
	v_pk_mul_f32 v[4:5], v[4:5], v[88:89]                      // 0000000096F8: D3B14004 1802B104
	v_pk_mul_f32 v[6:7], v[6:7], v[90:91]                      // 000000009700: D3B14006 1802B506
	v_pk_mul_f32 v[4:5], v[4:5], s[60:61]                      // 000000009708: D3B14004 18007904
	v_pk_mul_f32 v[6:7], v[6:7], s[60:61]                      // 000000009710: D3B14006 18007906
	v_exp_f32_e32 v4, v4                                       // 000000009718: 7E084104
	v_exp_f32_e32 v5, v5                                       // 00000000971C: 7E0A4105
	v_exp_f32_e32 v6, v6                                       // 000000009720: 7E0C4106
	v_exp_f32_e32 v7, v7                                       // 000000009724: 7E0E4107
	v_add_f32_e64 v4, v4, 1.0                                  // 000000009728: D1010004 0001E504
	v_add_f32_e64 v5, v5, 1.0                                  // 000000009730: D1010005 0001E505
	v_add_f32_e64 v6, v6, 1.0                                  // 000000009738: D1010006 0001E506
	v_add_f32_e64 v7, v7, 1.0                                  // 000000009740: D1010007 0001E507
	v_rcp_f32_e32 v4, v4                                       // 000000009748: 7E084504
	v_rcp_f32_e32 v5, v5                                       // 00000000974C: 7E0A4505
	v_rcp_f32_e32 v6, v6                                       // 000000009750: 7E0C4506
	v_rcp_f32_e32 v7, v7                                       // 000000009754: 7E0E4507
	v_mul_f32_e32 v88, v88, v4                                 // 000000009758: 0AB00958
	v_mul_f32_e32 v89, v89, v5                                 // 00000000975C: 0AB20B59
	v_mul_f32_e32 v90, v90, v6                                 // 000000009760: 0AB40D5A
	v_mul_f32_e32 v91, v91, v7                                 // 000000009764: 0AB60F5B
	v_mul_f32_e32 v88, v88, v152                               // 000000009768: 0AB13158
	v_mul_f32_e32 v89, v89, v153                               // 00000000976C: 0AB33359
	v_mul_f32_e32 v90, v90, v154                               // 000000009770: 0AB5355A
	v_mul_f32_e32 v91, v91, v155                               // 000000009774: 0AB7375B
	v_pk_mul_f32 v[4:5], v[92:93], v[92:93]                    // 000000009778: D3B14004 1802B95C
	v_pk_mul_f32 v[6:7], v[94:95], v[94:95]                    // 000000009780: D3B14006 1802BD5E
	v_pk_fma_f32 v[4:5], v[4:5], s[78:79], v[8:9]              // 000000009788: D3B04004 1C209D04
	v_pk_fma_f32 v[6:7], v[6:7], s[78:79], v[8:9]              // 000000009790: D3B04006 1C209D06
	v_pk_mul_f32 v[4:5], v[4:5], v[92:93]                      // 000000009798: D3B14004 1802B904
	v_pk_mul_f32 v[6:7], v[6:7], v[94:95]                      // 0000000097A0: D3B14006 1802BD06
	v_pk_mul_f32 v[4:5], v[4:5], s[60:61]                      // 0000000097A8: D3B14004 18007904
	v_pk_mul_f32 v[6:7], v[6:7], s[60:61]                      // 0000000097B0: D3B14006 18007906
	v_exp_f32_e32 v4, v4                                       // 0000000097B8: 7E084104
	v_exp_f32_e32 v5, v5                                       // 0000000097BC: 7E0A4105
	v_exp_f32_e32 v6, v6                                       // 0000000097C0: 7E0C4106
	v_exp_f32_e32 v7, v7                                       // 0000000097C4: 7E0E4107
	v_add_f32_e64 v4, v4, 1.0                                  // 0000000097C8: D1010004 0001E504
	v_add_f32_e64 v5, v5, 1.0                                  // 0000000097D0: D1010005 0001E505
	v_add_f32_e64 v6, v6, 1.0                                  // 0000000097D8: D1010006 0001E506
	v_add_f32_e64 v7, v7, 1.0                                  // 0000000097E0: D1010007 0001E507
	v_rcp_f32_e32 v4, v4                                       // 0000000097E8: 7E084504
	v_rcp_f32_e32 v5, v5                                       // 0000000097EC: 7E0A4505
	v_rcp_f32_e32 v6, v6                                       // 0000000097F0: 7E0C4506
	v_rcp_f32_e32 v7, v7                                       // 0000000097F4: 7E0E4507
	v_mul_f32_e32 v92, v92, v4                                 // 0000000097F8: 0AB8095C
	v_mul_f32_e32 v93, v93, v5                                 // 0000000097FC: 0ABA0B5D
	v_mul_f32_e32 v94, v94, v6                                 // 000000009800: 0ABC0D5E
	v_mul_f32_e32 v95, v95, v7                                 // 000000009804: 0ABE0F5F
	v_mul_f32_e32 v92, v92, v156                               // 000000009808: 0AB9395C
	v_mul_f32_e32 v93, v93, v157                               // 00000000980C: 0ABB3B5D
	v_mul_f32_e32 v94, v94, v158                               // 000000009810: 0ABD3D5E
	v_mul_f32_e32 v95, v95, v159                               // 000000009814: 0ABF3F5F
	v_pk_mul_f32 v[4:5], v[96:97], v[96:97]                    // 000000009818: D3B14004 1802C160
	v_pk_mul_f32 v[6:7], v[98:99], v[98:99]                    // 000000009820: D3B14006 1802C562
	v_pk_fma_f32 v[4:5], v[4:5], s[78:79], v[8:9]              // 000000009828: D3B04004 1C209D04
	v_pk_fma_f32 v[6:7], v[6:7], s[78:79], v[8:9]              // 000000009830: D3B04006 1C209D06
	v_pk_mul_f32 v[4:5], v[4:5], v[96:97]                      // 000000009838: D3B14004 1802C104
	v_pk_mul_f32 v[6:7], v[6:7], v[98:99]                      // 000000009840: D3B14006 1802C506
	v_pk_mul_f32 v[4:5], v[4:5], s[60:61]                      // 000000009848: D3B14004 18007904
	v_pk_mul_f32 v[6:7], v[6:7], s[60:61]                      // 000000009850: D3B14006 18007906
	v_exp_f32_e32 v4, v4                                       // 000000009858: 7E084104
	v_exp_f32_e32 v5, v5                                       // 00000000985C: 7E0A4105
	v_exp_f32_e32 v6, v6                                       // 000000009860: 7E0C4106
	v_exp_f32_e32 v7, v7                                       // 000000009864: 7E0E4107
	v_add_f32_e64 v4, v4, 1.0                                  // 000000009868: D1010004 0001E504
	v_add_f32_e64 v5, v5, 1.0                                  // 000000009870: D1010005 0001E505
	v_add_f32_e64 v6, v6, 1.0                                  // 000000009878: D1010006 0001E506
	v_add_f32_e64 v7, v7, 1.0                                  // 000000009880: D1010007 0001E507
	v_rcp_f32_e32 v4, v4                                       // 000000009888: 7E084504
	v_rcp_f32_e32 v5, v5                                       // 00000000988C: 7E0A4505
	v_rcp_f32_e32 v6, v6                                       // 000000009890: 7E0C4506
	v_rcp_f32_e32 v7, v7                                       // 000000009894: 7E0E4507
	v_mul_f32_e32 v96, v96, v4                                 // 000000009898: 0AC00960
	v_mul_f32_e32 v97, v97, v5                                 // 00000000989C: 0AC20B61
	v_mul_f32_e32 v98, v98, v6                                 // 0000000098A0: 0AC40D62
	v_mul_f32_e32 v99, v99, v7                                 // 0000000098A4: 0AC60F63
	v_mul_f32_e32 v96, v96, v160                               // 0000000098A8: 0AC14160
	v_mul_f32_e32 v97, v97, v161                               // 0000000098AC: 0AC34361
	v_mul_f32_e32 v98, v98, v162                               // 0000000098B0: 0AC54562
	v_mul_f32_e32 v99, v99, v163                               // 0000000098B4: 0AC74763
	v_pk_mul_f32 v[4:5], v[100:101], v[100:101]                // 0000000098B8: D3B14004 1802C964
	v_pk_mul_f32 v[6:7], v[102:103], v[102:103]                // 0000000098C0: D3B14006 1802CD66
	v_pk_fma_f32 v[4:5], v[4:5], s[78:79], v[8:9]              // 0000000098C8: D3B04004 1C209D04
	v_pk_fma_f32 v[6:7], v[6:7], s[78:79], v[8:9]              // 0000000098D0: D3B04006 1C209D06
	v_pk_mul_f32 v[4:5], v[4:5], v[100:101]                    // 0000000098D8: D3B14004 1802C904
	v_pk_mul_f32 v[6:7], v[6:7], v[102:103]                    // 0000000098E0: D3B14006 1802CD06
	v_pk_mul_f32 v[4:5], v[4:5], s[60:61]                      // 0000000098E8: D3B14004 18007904
	v_pk_mul_f32 v[6:7], v[6:7], s[60:61]                      // 0000000098F0: D3B14006 18007906
	v_exp_f32_e32 v4, v4                                       // 0000000098F8: 7E084104
	v_exp_f32_e32 v5, v5                                       // 0000000098FC: 7E0A4105
	v_exp_f32_e32 v6, v6                                       // 000000009900: 7E0C4106
	v_exp_f32_e32 v7, v7                                       // 000000009904: 7E0E4107
	v_add_f32_e64 v4, v4, 1.0                                  // 000000009908: D1010004 0001E504
	v_add_f32_e64 v5, v5, 1.0                                  // 000000009910: D1010005 0001E505
	v_add_f32_e64 v6, v6, 1.0                                  // 000000009918: D1010006 0001E506
	v_add_f32_e64 v7, v7, 1.0                                  // 000000009920: D1010007 0001E507
	v_rcp_f32_e32 v4, v4                                       // 000000009928: 7E084504
	v_rcp_f32_e32 v5, v5                                       // 00000000992C: 7E0A4505
	v_rcp_f32_e32 v6, v6                                       // 000000009930: 7E0C4506
	v_rcp_f32_e32 v7, v7                                       // 000000009934: 7E0E4507
	v_mul_f32_e32 v100, v100, v4                               // 000000009938: 0AC80964
	v_mul_f32_e32 v101, v101, v5                               // 00000000993C: 0ACA0B65
	v_mul_f32_e32 v102, v102, v6                               // 000000009940: 0ACC0D66
	v_mul_f32_e32 v103, v103, v7                               // 000000009944: 0ACE0F67
	v_mul_f32_e32 v100, v100, v164                             // 000000009948: 0AC94964
	v_mul_f32_e32 v101, v101, v165                             // 00000000994C: 0ACB4B65
	v_mul_f32_e32 v102, v102, v166                             // 000000009950: 0ACD4D66
	v_mul_f32_e32 v103, v103, v167                             // 000000009954: 0ACF4F67
	v_pk_mul_f32 v[4:5], v[104:105], v[104:105]                // 000000009958: D3B14004 1802D168
	v_pk_mul_f32 v[6:7], v[106:107], v[106:107]                // 000000009960: D3B14006 1802D56A
	v_pk_fma_f32 v[4:5], v[4:5], s[78:79], v[8:9]              // 000000009968: D3B04004 1C209D04
	v_pk_fma_f32 v[6:7], v[6:7], s[78:79], v[8:9]              // 000000009970: D3B04006 1C209D06
	v_pk_mul_f32 v[4:5], v[4:5], v[104:105]                    // 000000009978: D3B14004 1802D104
	v_pk_mul_f32 v[6:7], v[6:7], v[106:107]                    // 000000009980: D3B14006 1802D506
	v_pk_mul_f32 v[4:5], v[4:5], s[60:61]                      // 000000009988: D3B14004 18007904
	v_pk_mul_f32 v[6:7], v[6:7], s[60:61]                      // 000000009990: D3B14006 18007906
	v_exp_f32_e32 v4, v4                                       // 000000009998: 7E084104
	v_exp_f32_e32 v5, v5                                       // 00000000999C: 7E0A4105
	v_exp_f32_e32 v6, v6                                       // 0000000099A0: 7E0C4106
	v_exp_f32_e32 v7, v7                                       // 0000000099A4: 7E0E4107
	v_add_f32_e64 v4, v4, 1.0                                  // 0000000099A8: D1010004 0001E504
	v_add_f32_e64 v5, v5, 1.0                                  // 0000000099B0: D1010005 0001E505
	v_add_f32_e64 v6, v6, 1.0                                  // 0000000099B8: D1010006 0001E506
	v_add_f32_e64 v7, v7, 1.0                                  // 0000000099C0: D1010007 0001E507
	v_rcp_f32_e32 v4, v4                                       // 0000000099C8: 7E084504
	v_rcp_f32_e32 v5, v5                                       // 0000000099CC: 7E0A4505
	v_rcp_f32_e32 v6, v6                                       // 0000000099D0: 7E0C4506
	v_rcp_f32_e32 v7, v7                                       // 0000000099D4: 7E0E4507
	v_mul_f32_e32 v104, v104, v4                               // 0000000099D8: 0AD00968
	v_mul_f32_e32 v105, v105, v5                               // 0000000099DC: 0AD20B69
	v_mul_f32_e32 v106, v106, v6                               // 0000000099E0: 0AD40D6A
	v_mul_f32_e32 v107, v107, v7                               // 0000000099E4: 0AD60F6B
	v_mul_f32_e32 v104, v104, v168                             // 0000000099E8: 0AD15168
	v_mul_f32_e32 v105, v105, v169                             // 0000000099EC: 0AD35369
	v_mul_f32_e32 v106, v106, v170                             // 0000000099F0: 0AD5556A
	v_mul_f32_e32 v107, v107, v171                             // 0000000099F4: 0AD7576B
	v_pk_mul_f32 v[4:5], v[108:109], v[108:109]                // 0000000099F8: D3B14004 1802D96C
	v_pk_mul_f32 v[6:7], v[110:111], v[110:111]                // 000000009A00: D3B14006 1802DD6E
	v_pk_fma_f32 v[4:5], v[4:5], s[78:79], v[8:9]              // 000000009A08: D3B04004 1C209D04
	v_pk_fma_f32 v[6:7], v[6:7], s[78:79], v[8:9]              // 000000009A10: D3B04006 1C209D06
	v_pk_mul_f32 v[4:5], v[4:5], v[108:109]                    // 000000009A18: D3B14004 1802D904
	v_pk_mul_f32 v[6:7], v[6:7], v[110:111]                    // 000000009A20: D3B14006 1802DD06
	v_pk_mul_f32 v[4:5], v[4:5], s[60:61]                      // 000000009A28: D3B14004 18007904
	v_pk_mul_f32 v[6:7], v[6:7], s[60:61]                      // 000000009A30: D3B14006 18007906
	v_exp_f32_e32 v4, v4                                       // 000000009A38: 7E084104
	v_exp_f32_e32 v5, v5                                       // 000000009A3C: 7E0A4105
	v_exp_f32_e32 v6, v6                                       // 000000009A40: 7E0C4106
	v_exp_f32_e32 v7, v7                                       // 000000009A44: 7E0E4107
	v_add_f32_e64 v4, v4, 1.0                                  // 000000009A48: D1010004 0001E504
	v_add_f32_e64 v5, v5, 1.0                                  // 000000009A50: D1010005 0001E505
	v_add_f32_e64 v6, v6, 1.0                                  // 000000009A58: D1010006 0001E506
	v_add_f32_e64 v7, v7, 1.0                                  // 000000009A60: D1010007 0001E507
	v_rcp_f32_e32 v4, v4                                       // 000000009A68: 7E084504
	v_rcp_f32_e32 v5, v5                                       // 000000009A6C: 7E0A4505
	v_rcp_f32_e32 v6, v6                                       // 000000009A70: 7E0C4506
	v_rcp_f32_e32 v7, v7                                       // 000000009A74: 7E0E4507
	v_mul_f32_e32 v108, v108, v4                               // 000000009A78: 0AD8096C
	v_mul_f32_e32 v109, v109, v5                               // 000000009A7C: 0ADA0B6D
	v_mul_f32_e32 v110, v110, v6                               // 000000009A80: 0ADC0D6E
	v_mul_f32_e32 v111, v111, v7                               // 000000009A84: 0ADE0F6F
	v_mul_f32_e32 v108, v108, v172                             // 000000009A88: 0AD9596C
	v_mul_f32_e32 v109, v109, v173                             // 000000009A8C: 0ADB5B6D
	v_mul_f32_e32 v110, v110, v174                             // 000000009A90: 0ADD5D6E
	v_mul_f32_e32 v111, v111, v175                             // 000000009A94: 0ADF5F6F
	v_pk_mul_f32 v[4:5], v[112:113], v[112:113]                // 000000009A98: D3B14004 1802E170
	v_pk_mul_f32 v[6:7], v[114:115], v[114:115]                // 000000009AA0: D3B14006 1802E572
	v_pk_fma_f32 v[4:5], v[4:5], s[78:79], v[8:9]              // 000000009AA8: D3B04004 1C209D04
	v_pk_fma_f32 v[6:7], v[6:7], s[78:79], v[8:9]              // 000000009AB0: D3B04006 1C209D06
	v_pk_mul_f32 v[4:5], v[4:5], v[112:113]                    // 000000009AB8: D3B14004 1802E104
	v_pk_mul_f32 v[6:7], v[6:7], v[114:115]                    // 000000009AC0: D3B14006 1802E506
	v_pk_mul_f32 v[4:5], v[4:5], s[60:61]                      // 000000009AC8: D3B14004 18007904
	v_pk_mul_f32 v[6:7], v[6:7], s[60:61]                      // 000000009AD0: D3B14006 18007906
	v_exp_f32_e32 v4, v4                                       // 000000009AD8: 7E084104
	v_exp_f32_e32 v5, v5                                       // 000000009ADC: 7E0A4105
	v_exp_f32_e32 v6, v6                                       // 000000009AE0: 7E0C4106
	v_exp_f32_e32 v7, v7                                       // 000000009AE4: 7E0E4107
	v_add_f32_e64 v4, v4, 1.0                                  // 000000009AE8: D1010004 0001E504
	v_add_f32_e64 v5, v5, 1.0                                  // 000000009AF0: D1010005 0001E505
	v_add_f32_e64 v6, v6, 1.0                                  // 000000009AF8: D1010006 0001E506
	v_add_f32_e64 v7, v7, 1.0                                  // 000000009B00: D1010007 0001E507
	v_rcp_f32_e32 v4, v4                                       // 000000009B08: 7E084504
	v_rcp_f32_e32 v5, v5                                       // 000000009B0C: 7E0A4505
	v_rcp_f32_e32 v6, v6                                       // 000000009B10: 7E0C4506
	v_rcp_f32_e32 v7, v7                                       // 000000009B14: 7E0E4507
	v_mul_f32_e32 v112, v112, v4                               // 000000009B18: 0AE00970
	v_mul_f32_e32 v113, v113, v5                               // 000000009B1C: 0AE20B71
	v_mul_f32_e32 v114, v114, v6                               // 000000009B20: 0AE40D72
	v_mul_f32_e32 v115, v115, v7                               // 000000009B24: 0AE60F73
	v_mul_f32_e32 v112, v112, v176                             // 000000009B28: 0AE16170
	v_mul_f32_e32 v113, v113, v177                             // 000000009B2C: 0AE36371
	v_mul_f32_e32 v114, v114, v178                             // 000000009B30: 0AE56572
	v_mul_f32_e32 v115, v115, v179                             // 000000009B34: 0AE76773
	v_pk_mul_f32 v[4:5], v[116:117], v[116:117]                // 000000009B38: D3B14004 1802E974
	v_pk_mul_f32 v[6:7], v[118:119], v[118:119]                // 000000009B40: D3B14006 1802ED76
	v_pk_fma_f32 v[4:5], v[4:5], s[78:79], v[8:9]              // 000000009B48: D3B04004 1C209D04
	v_pk_fma_f32 v[6:7], v[6:7], s[78:79], v[8:9]              // 000000009B50: D3B04006 1C209D06
	v_pk_mul_f32 v[4:5], v[4:5], v[116:117]                    // 000000009B58: D3B14004 1802E904
	v_pk_mul_f32 v[6:7], v[6:7], v[118:119]                    // 000000009B60: D3B14006 1802ED06
	v_pk_mul_f32 v[4:5], v[4:5], s[60:61]                      // 000000009B68: D3B14004 18007904
	v_pk_mul_f32 v[6:7], v[6:7], s[60:61]                      // 000000009B70: D3B14006 18007906
	v_exp_f32_e32 v4, v4                                       // 000000009B78: 7E084104
	v_exp_f32_e32 v5, v5                                       // 000000009B7C: 7E0A4105
	v_exp_f32_e32 v6, v6                                       // 000000009B80: 7E0C4106
	v_exp_f32_e32 v7, v7                                       // 000000009B84: 7E0E4107
	v_add_f32_e64 v4, v4, 1.0                                  // 000000009B88: D1010004 0001E504
	v_add_f32_e64 v5, v5, 1.0                                  // 000000009B90: D1010005 0001E505
	v_add_f32_e64 v6, v6, 1.0                                  // 000000009B98: D1010006 0001E506
	v_add_f32_e64 v7, v7, 1.0                                  // 000000009BA0: D1010007 0001E507
	v_rcp_f32_e32 v4, v4                                       // 000000009BA8: 7E084504
	v_rcp_f32_e32 v5, v5                                       // 000000009BAC: 7E0A4505
	v_rcp_f32_e32 v6, v6                                       // 000000009BB0: 7E0C4506
	v_rcp_f32_e32 v7, v7                                       // 000000009BB4: 7E0E4507
	v_mul_f32_e32 v116, v116, v4                               // 000000009BB8: 0AE80974
	v_mul_f32_e32 v117, v117, v5                               // 000000009BBC: 0AEA0B75
	v_mul_f32_e32 v118, v118, v6                               // 000000009BC0: 0AEC0D76
	v_mul_f32_e32 v119, v119, v7                               // 000000009BC4: 0AEE0F77
	v_mul_f32_e32 v116, v116, v180                             // 000000009BC8: 0AE96974
	v_mul_f32_e32 v117, v117, v181                             // 000000009BCC: 0AEB6B75
	v_mul_f32_e32 v118, v118, v182                             // 000000009BD0: 0AED6D76
	v_mul_f32_e32 v119, v119, v183                             // 000000009BD4: 0AEF6F77
	s_branch label_1E7A                                        // 000000009BD8: BF820200

0000000000009bdc <label_1C7A>:
	v_mul_f32_e64 v4, -v56, s6                                 // 000000009BDC: D1050004 20000D38
	v_mul_f32_e64 v5, -v57, s6                                 // 000000009BE4: D1050005 20000D39
	v_mul_f32_e64 v6, -v58, s6                                 // 000000009BEC: D1050006 20000D3A
	v_mul_f32_e64 v7, -v59, s6                                 // 000000009BF4: D1050007 20000D3B
	v_exp_f32_e32 v4, v4                                       // 000000009BFC: 7E084104
	v_exp_f32_e32 v5, v5                                       // 000000009C00: 7E0A4105
	v_exp_f32_e32 v6, v6                                       // 000000009C04: 7E0C4106
	v_exp_f32_e32 v7, v7                                       // 000000009C08: 7E0E4107
	v_add_f32_e64 v4, v4, 1.0                                  // 000000009C0C: D1010004 0001E504
	v_add_f32_e64 v5, v5, 1.0                                  // 000000009C14: D1010005 0001E505
	v_add_f32_e64 v6, v6, 1.0                                  // 000000009C1C: D1010006 0001E506
	v_add_f32_e64 v7, v7, 1.0                                  // 000000009C24: D1010007 0001E507
	v_rcp_f32_e32 v4, v4                                       // 000000009C2C: 7E084504
	v_rcp_f32_e32 v5, v5                                       // 000000009C30: 7E0A4505
	v_rcp_f32_e32 v6, v6                                       // 000000009C34: 7E0C4506
	v_rcp_f32_e32 v7, v7                                       // 000000009C38: 7E0E4507
	v_mul_f32_e32 v56, v56, v4                                 // 000000009C3C: 0A700938
	v_mul_f32_e32 v57, v57, v5                                 // 000000009C40: 0A720B39
	v_mul_f32_e32 v58, v58, v6                                 // 000000009C44: 0A740D3A
	v_mul_f32_e32 v59, v59, v7                                 // 000000009C48: 0A760F3B
	v_mul_f32_e32 v56, v56, v120                               // 000000009C4C: 0A70F138
	v_mul_f32_e32 v57, v57, v121                               // 000000009C50: 0A72F339
	v_mul_f32_e32 v58, v58, v122                               // 000000009C54: 0A74F53A
	v_mul_f32_e32 v59, v59, v123                               // 000000009C58: 0A76F73B
	v_mul_f32_e64 v4, -v60, s6                                 // 000000009C5C: D1050004 20000D3C
	v_mul_f32_e64 v5, -v61, s6                                 // 000000009C64: D1050005 20000D3D
	v_mul_f32_e64 v6, -v62, s6                                 // 000000009C6C: D1050006 20000D3E
	v_mul_f32_e64 v7, -v63, s6                                 // 000000009C74: D1050007 20000D3F
	v_exp_f32_e32 v4, v4                                       // 000000009C7C: 7E084104
	v_exp_f32_e32 v5, v5                                       // 000000009C80: 7E0A4105
	v_exp_f32_e32 v6, v6                                       // 000000009C84: 7E0C4106
	v_exp_f32_e32 v7, v7                                       // 000000009C88: 7E0E4107
	v_add_f32_e64 v4, v4, 1.0                                  // 000000009C8C: D1010004 0001E504
	v_add_f32_e64 v5, v5, 1.0                                  // 000000009C94: D1010005 0001E505
	v_add_f32_e64 v6, v6, 1.0                                  // 000000009C9C: D1010006 0001E506
	v_add_f32_e64 v7, v7, 1.0                                  // 000000009CA4: D1010007 0001E507
	v_rcp_f32_e32 v4, v4                                       // 000000009CAC: 7E084504
	v_rcp_f32_e32 v5, v5                                       // 000000009CB0: 7E0A4505
	v_rcp_f32_e32 v6, v6                                       // 000000009CB4: 7E0C4506
	v_rcp_f32_e32 v7, v7                                       // 000000009CB8: 7E0E4507
	v_mul_f32_e32 v60, v60, v4                                 // 000000009CBC: 0A78093C
	v_mul_f32_e32 v61, v61, v5                                 // 000000009CC0: 0A7A0B3D
	v_mul_f32_e32 v62, v62, v6                                 // 000000009CC4: 0A7C0D3E
	v_mul_f32_e32 v63, v63, v7                                 // 000000009CC8: 0A7E0F3F
	v_mul_f32_e32 v60, v60, v124                               // 000000009CCC: 0A78F93C
	v_mul_f32_e32 v61, v61, v125                               // 000000009CD0: 0A7AFB3D
	v_mul_f32_e32 v62, v62, v126                               // 000000009CD4: 0A7CFD3E
	v_mul_f32_e32 v63, v63, v127                               // 000000009CD8: 0A7EFF3F
	v_mul_f32_e64 v4, -v64, s6                                 // 000000009CDC: D1050004 20000D40
	v_mul_f32_e64 v5, -v65, s6                                 // 000000009CE4: D1050005 20000D41
	v_mul_f32_e64 v6, -v66, s6                                 // 000000009CEC: D1050006 20000D42
	v_mul_f32_e64 v7, -v67, s6                                 // 000000009CF4: D1050007 20000D43
	v_exp_f32_e32 v4, v4                                       // 000000009CFC: 7E084104
	v_exp_f32_e32 v5, v5                                       // 000000009D00: 7E0A4105
	v_exp_f32_e32 v6, v6                                       // 000000009D04: 7E0C4106
	v_exp_f32_e32 v7, v7                                       // 000000009D08: 7E0E4107
	v_add_f32_e64 v4, v4, 1.0                                  // 000000009D0C: D1010004 0001E504
	v_add_f32_e64 v5, v5, 1.0                                  // 000000009D14: D1010005 0001E505
	v_add_f32_e64 v6, v6, 1.0                                  // 000000009D1C: D1010006 0001E506
	v_add_f32_e64 v7, v7, 1.0                                  // 000000009D24: D1010007 0001E507
	v_rcp_f32_e32 v4, v4                                       // 000000009D2C: 7E084504
	v_rcp_f32_e32 v5, v5                                       // 000000009D30: 7E0A4505
	v_rcp_f32_e32 v6, v6                                       // 000000009D34: 7E0C4506
	v_rcp_f32_e32 v7, v7                                       // 000000009D38: 7E0E4507
	v_mul_f32_e32 v64, v64, v4                                 // 000000009D3C: 0A800940
	v_mul_f32_e32 v65, v65, v5                                 // 000000009D40: 0A820B41
	v_mul_f32_e32 v66, v66, v6                                 // 000000009D44: 0A840D42
	v_mul_f32_e32 v67, v67, v7                                 // 000000009D48: 0A860F43
	v_mul_f32_e32 v64, v64, v128                               // 000000009D4C: 0A810140
	v_mul_f32_e32 v65, v65, v129                               // 000000009D50: 0A830341
	v_mul_f32_e32 v66, v66, v130                               // 000000009D54: 0A850542
	v_mul_f32_e32 v67, v67, v131                               // 000000009D58: 0A870743
	v_mul_f32_e64 v4, -v68, s6                                 // 000000009D5C: D1050004 20000D44
	v_mul_f32_e64 v5, -v69, s6                                 // 000000009D64: D1050005 20000D45
	v_mul_f32_e64 v6, -v70, s6                                 // 000000009D6C: D1050006 20000D46
	v_mul_f32_e64 v7, -v71, s6                                 // 000000009D74: D1050007 20000D47
	v_exp_f32_e32 v4, v4                                       // 000000009D7C: 7E084104
	v_exp_f32_e32 v5, v5                                       // 000000009D80: 7E0A4105
	v_exp_f32_e32 v6, v6                                       // 000000009D84: 7E0C4106
	v_exp_f32_e32 v7, v7                                       // 000000009D88: 7E0E4107
	v_add_f32_e64 v4, v4, 1.0                                  // 000000009D8C: D1010004 0001E504
	v_add_f32_e64 v5, v5, 1.0                                  // 000000009D94: D1010005 0001E505
	v_add_f32_e64 v6, v6, 1.0                                  // 000000009D9C: D1010006 0001E506
	v_add_f32_e64 v7, v7, 1.0                                  // 000000009DA4: D1010007 0001E507
	v_rcp_f32_e32 v4, v4                                       // 000000009DAC: 7E084504
	v_rcp_f32_e32 v5, v5                                       // 000000009DB0: 7E0A4505
	v_rcp_f32_e32 v6, v6                                       // 000000009DB4: 7E0C4506
	v_rcp_f32_e32 v7, v7                                       // 000000009DB8: 7E0E4507
	v_mul_f32_e32 v68, v68, v4                                 // 000000009DBC: 0A880944
	v_mul_f32_e32 v69, v69, v5                                 // 000000009DC0: 0A8A0B45
	v_mul_f32_e32 v70, v70, v6                                 // 000000009DC4: 0A8C0D46
	v_mul_f32_e32 v71, v71, v7                                 // 000000009DC8: 0A8E0F47
	v_mul_f32_e32 v68, v68, v132                               // 000000009DCC: 0A890944
	v_mul_f32_e32 v69, v69, v133                               // 000000009DD0: 0A8B0B45
	v_mul_f32_e32 v70, v70, v134                               // 000000009DD4: 0A8D0D46
	v_mul_f32_e32 v71, v71, v135                               // 000000009DD8: 0A8F0F47
	v_mul_f32_e64 v4, -v72, s6                                 // 000000009DDC: D1050004 20000D48
	v_mul_f32_e64 v5, -v73, s6                                 // 000000009DE4: D1050005 20000D49
	v_mul_f32_e64 v6, -v74, s6                                 // 000000009DEC: D1050006 20000D4A
	v_mul_f32_e64 v7, -v75, s6                                 // 000000009DF4: D1050007 20000D4B
	v_exp_f32_e32 v4, v4                                       // 000000009DFC: 7E084104
	v_exp_f32_e32 v5, v5                                       // 000000009E00: 7E0A4105
	v_exp_f32_e32 v6, v6                                       // 000000009E04: 7E0C4106
	v_exp_f32_e32 v7, v7                                       // 000000009E08: 7E0E4107
	v_add_f32_e64 v4, v4, 1.0                                  // 000000009E0C: D1010004 0001E504
	v_add_f32_e64 v5, v5, 1.0                                  // 000000009E14: D1010005 0001E505
	v_add_f32_e64 v6, v6, 1.0                                  // 000000009E1C: D1010006 0001E506
	v_add_f32_e64 v7, v7, 1.0                                  // 000000009E24: D1010007 0001E507
	v_rcp_f32_e32 v4, v4                                       // 000000009E2C: 7E084504
	v_rcp_f32_e32 v5, v5                                       // 000000009E30: 7E0A4505
	v_rcp_f32_e32 v6, v6                                       // 000000009E34: 7E0C4506
	v_rcp_f32_e32 v7, v7                                       // 000000009E38: 7E0E4507
	v_mul_f32_e32 v72, v72, v4                                 // 000000009E3C: 0A900948
	v_mul_f32_e32 v73, v73, v5                                 // 000000009E40: 0A920B49
	v_mul_f32_e32 v74, v74, v6                                 // 000000009E44: 0A940D4A
	v_mul_f32_e32 v75, v75, v7                                 // 000000009E48: 0A960F4B
	v_mul_f32_e32 v72, v72, v136                               // 000000009E4C: 0A911148
	v_mul_f32_e32 v73, v73, v137                               // 000000009E50: 0A931349
	v_mul_f32_e32 v74, v74, v138                               // 000000009E54: 0A95154A
	v_mul_f32_e32 v75, v75, v139                               // 000000009E58: 0A97174B
	v_mul_f32_e64 v4, -v76, s6                                 // 000000009E5C: D1050004 20000D4C
	v_mul_f32_e64 v5, -v77, s6                                 // 000000009E64: D1050005 20000D4D
	v_mul_f32_e64 v6, -v78, s6                                 // 000000009E6C: D1050006 20000D4E
	v_mul_f32_e64 v7, -v79, s6                                 // 000000009E74: D1050007 20000D4F
	v_exp_f32_e32 v4, v4                                       // 000000009E7C: 7E084104
	v_exp_f32_e32 v5, v5                                       // 000000009E80: 7E0A4105
	v_exp_f32_e32 v6, v6                                       // 000000009E84: 7E0C4106
	v_exp_f32_e32 v7, v7                                       // 000000009E88: 7E0E4107
	v_add_f32_e64 v4, v4, 1.0                                  // 000000009E8C: D1010004 0001E504
	v_add_f32_e64 v5, v5, 1.0                                  // 000000009E94: D1010005 0001E505
	v_add_f32_e64 v6, v6, 1.0                                  // 000000009E9C: D1010006 0001E506
	v_add_f32_e64 v7, v7, 1.0                                  // 000000009EA4: D1010007 0001E507
	v_rcp_f32_e32 v4, v4                                       // 000000009EAC: 7E084504
	v_rcp_f32_e32 v5, v5                                       // 000000009EB0: 7E0A4505
	v_rcp_f32_e32 v6, v6                                       // 000000009EB4: 7E0C4506
	v_rcp_f32_e32 v7, v7                                       // 000000009EB8: 7E0E4507
	v_mul_f32_e32 v76, v76, v4                                 // 000000009EBC: 0A98094C
	v_mul_f32_e32 v77, v77, v5                                 // 000000009EC0: 0A9A0B4D
	v_mul_f32_e32 v78, v78, v6                                 // 000000009EC4: 0A9C0D4E
	v_mul_f32_e32 v79, v79, v7                                 // 000000009EC8: 0A9E0F4F
	v_mul_f32_e32 v76, v76, v140                               // 000000009ECC: 0A99194C
	v_mul_f32_e32 v77, v77, v141                               // 000000009ED0: 0A9B1B4D
	v_mul_f32_e32 v78, v78, v142                               // 000000009ED4: 0A9D1D4E
	v_mul_f32_e32 v79, v79, v143                               // 000000009ED8: 0A9F1F4F
	v_mul_f32_e64 v4, -v80, s6                                 // 000000009EDC: D1050004 20000D50
	v_mul_f32_e64 v5, -v81, s6                                 // 000000009EE4: D1050005 20000D51
	v_mul_f32_e64 v6, -v82, s6                                 // 000000009EEC: D1050006 20000D52
	v_mul_f32_e64 v7, -v83, s6                                 // 000000009EF4: D1050007 20000D53
	v_exp_f32_e32 v4, v4                                       // 000000009EFC: 7E084104
	v_exp_f32_e32 v5, v5                                       // 000000009F00: 7E0A4105
	v_exp_f32_e32 v6, v6                                       // 000000009F04: 7E0C4106
	v_exp_f32_e32 v7, v7                                       // 000000009F08: 7E0E4107
	v_add_f32_e64 v4, v4, 1.0                                  // 000000009F0C: D1010004 0001E504
	v_add_f32_e64 v5, v5, 1.0                                  // 000000009F14: D1010005 0001E505
	v_add_f32_e64 v6, v6, 1.0                                  // 000000009F1C: D1010006 0001E506
	v_add_f32_e64 v7, v7, 1.0                                  // 000000009F24: D1010007 0001E507
	v_rcp_f32_e32 v4, v4                                       // 000000009F2C: 7E084504
	v_rcp_f32_e32 v5, v5                                       // 000000009F30: 7E0A4505
	v_rcp_f32_e32 v6, v6                                       // 000000009F34: 7E0C4506
	v_rcp_f32_e32 v7, v7                                       // 000000009F38: 7E0E4507
	v_mul_f32_e32 v80, v80, v4                                 // 000000009F3C: 0AA00950
	v_mul_f32_e32 v81, v81, v5                                 // 000000009F40: 0AA20B51
	v_mul_f32_e32 v82, v82, v6                                 // 000000009F44: 0AA40D52
	v_mul_f32_e32 v83, v83, v7                                 // 000000009F48: 0AA60F53
	v_mul_f32_e32 v80, v80, v144                               // 000000009F4C: 0AA12150
	v_mul_f32_e32 v81, v81, v145                               // 000000009F50: 0AA32351
	v_mul_f32_e32 v82, v82, v146                               // 000000009F54: 0AA52552
	v_mul_f32_e32 v83, v83, v147                               // 000000009F58: 0AA72753
	v_mul_f32_e64 v4, -v84, s6                                 // 000000009F5C: D1050004 20000D54
	v_mul_f32_e64 v5, -v85, s6                                 // 000000009F64: D1050005 20000D55
	v_mul_f32_e64 v6, -v86, s6                                 // 000000009F6C: D1050006 20000D56
	v_mul_f32_e64 v7, -v87, s6                                 // 000000009F74: D1050007 20000D57
	v_exp_f32_e32 v4, v4                                       // 000000009F7C: 7E084104
	v_exp_f32_e32 v5, v5                                       // 000000009F80: 7E0A4105
	v_exp_f32_e32 v6, v6                                       // 000000009F84: 7E0C4106
	v_exp_f32_e32 v7, v7                                       // 000000009F88: 7E0E4107
	v_add_f32_e64 v4, v4, 1.0                                  // 000000009F8C: D1010004 0001E504
	v_add_f32_e64 v5, v5, 1.0                                  // 000000009F94: D1010005 0001E505
	v_add_f32_e64 v6, v6, 1.0                                  // 000000009F9C: D1010006 0001E506
	v_add_f32_e64 v7, v7, 1.0                                  // 000000009FA4: D1010007 0001E507
	v_rcp_f32_e32 v4, v4                                       // 000000009FAC: 7E084504
	v_rcp_f32_e32 v5, v5                                       // 000000009FB0: 7E0A4505
	v_rcp_f32_e32 v6, v6                                       // 000000009FB4: 7E0C4506
	v_rcp_f32_e32 v7, v7                                       // 000000009FB8: 7E0E4507
	v_mul_f32_e32 v84, v84, v4                                 // 000000009FBC: 0AA80954
	v_mul_f32_e32 v85, v85, v5                                 // 000000009FC0: 0AAA0B55
	v_mul_f32_e32 v86, v86, v6                                 // 000000009FC4: 0AAC0D56
	v_mul_f32_e32 v87, v87, v7                                 // 000000009FC8: 0AAE0F57
	v_mul_f32_e32 v84, v84, v148                               // 000000009FCC: 0AA92954
	v_mul_f32_e32 v85, v85, v149                               // 000000009FD0: 0AAB2B55
	v_mul_f32_e32 v86, v86, v150                               // 000000009FD4: 0AAD2D56
	v_mul_f32_e32 v87, v87, v151                               // 000000009FD8: 0AAF2F57
	v_mul_f32_e64 v4, -v88, s6                                 // 000000009FDC: D1050004 20000D58
	v_mul_f32_e64 v5, -v89, s6                                 // 000000009FE4: D1050005 20000D59
	v_mul_f32_e64 v6, -v90, s6                                 // 000000009FEC: D1050006 20000D5A
	v_mul_f32_e64 v7, -v91, s6                                 // 000000009FF4: D1050007 20000D5B
	v_exp_f32_e32 v4, v4                                       // 000000009FFC: 7E084104
	v_exp_f32_e32 v5, v5                                       // 00000000A000: 7E0A4105
	v_exp_f32_e32 v6, v6                                       // 00000000A004: 7E0C4106
	v_exp_f32_e32 v7, v7                                       // 00000000A008: 7E0E4107
	v_add_f32_e64 v4, v4, 1.0                                  // 00000000A00C: D1010004 0001E504
	v_add_f32_e64 v5, v5, 1.0                                  // 00000000A014: D1010005 0001E505
	v_add_f32_e64 v6, v6, 1.0                                  // 00000000A01C: D1010006 0001E506
	v_add_f32_e64 v7, v7, 1.0                                  // 00000000A024: D1010007 0001E507
	v_rcp_f32_e32 v4, v4                                       // 00000000A02C: 7E084504
	v_rcp_f32_e32 v5, v5                                       // 00000000A030: 7E0A4505
	v_rcp_f32_e32 v6, v6                                       // 00000000A034: 7E0C4506
	v_rcp_f32_e32 v7, v7                                       // 00000000A038: 7E0E4507
	v_mul_f32_e32 v88, v88, v4                                 // 00000000A03C: 0AB00958
	v_mul_f32_e32 v89, v89, v5                                 // 00000000A040: 0AB20B59
	v_mul_f32_e32 v90, v90, v6                                 // 00000000A044: 0AB40D5A
	v_mul_f32_e32 v91, v91, v7                                 // 00000000A048: 0AB60F5B
	v_mul_f32_e32 v88, v88, v152                               // 00000000A04C: 0AB13158
	v_mul_f32_e32 v89, v89, v153                               // 00000000A050: 0AB33359
	v_mul_f32_e32 v90, v90, v154                               // 00000000A054: 0AB5355A
	v_mul_f32_e32 v91, v91, v155                               // 00000000A058: 0AB7375B
	v_mul_f32_e64 v4, -v92, s6                                 // 00000000A05C: D1050004 20000D5C
	v_mul_f32_e64 v5, -v93, s6                                 // 00000000A064: D1050005 20000D5D
	v_mul_f32_e64 v6, -v94, s6                                 // 00000000A06C: D1050006 20000D5E
	v_mul_f32_e64 v7, -v95, s6                                 // 00000000A074: D1050007 20000D5F
	v_exp_f32_e32 v4, v4                                       // 00000000A07C: 7E084104
	v_exp_f32_e32 v5, v5                                       // 00000000A080: 7E0A4105
	v_exp_f32_e32 v6, v6                                       // 00000000A084: 7E0C4106
	v_exp_f32_e32 v7, v7                                       // 00000000A088: 7E0E4107
	v_add_f32_e64 v4, v4, 1.0                                  // 00000000A08C: D1010004 0001E504
	v_add_f32_e64 v5, v5, 1.0                                  // 00000000A094: D1010005 0001E505
	v_add_f32_e64 v6, v6, 1.0                                  // 00000000A09C: D1010006 0001E506
	v_add_f32_e64 v7, v7, 1.0                                  // 00000000A0A4: D1010007 0001E507
	v_rcp_f32_e32 v4, v4                                       // 00000000A0AC: 7E084504
	v_rcp_f32_e32 v5, v5                                       // 00000000A0B0: 7E0A4505
	v_rcp_f32_e32 v6, v6                                       // 00000000A0B4: 7E0C4506
	v_rcp_f32_e32 v7, v7                                       // 00000000A0B8: 7E0E4507
	v_mul_f32_e32 v92, v92, v4                                 // 00000000A0BC: 0AB8095C
	v_mul_f32_e32 v93, v93, v5                                 // 00000000A0C0: 0ABA0B5D
	v_mul_f32_e32 v94, v94, v6                                 // 00000000A0C4: 0ABC0D5E
	v_mul_f32_e32 v95, v95, v7                                 // 00000000A0C8: 0ABE0F5F
	v_mul_f32_e32 v92, v92, v156                               // 00000000A0CC: 0AB9395C
	v_mul_f32_e32 v93, v93, v157                               // 00000000A0D0: 0ABB3B5D
	v_mul_f32_e32 v94, v94, v158                               // 00000000A0D4: 0ABD3D5E
	v_mul_f32_e32 v95, v95, v159                               // 00000000A0D8: 0ABF3F5F
	v_mul_f32_e64 v4, -v96, s6                                 // 00000000A0DC: D1050004 20000D60
	v_mul_f32_e64 v5, -v97, s6                                 // 00000000A0E4: D1050005 20000D61
	v_mul_f32_e64 v6, -v98, s6                                 // 00000000A0EC: D1050006 20000D62
	v_mul_f32_e64 v7, -v99, s6                                 // 00000000A0F4: D1050007 20000D63
	v_exp_f32_e32 v4, v4                                       // 00000000A0FC: 7E084104
	v_exp_f32_e32 v5, v5                                       // 00000000A100: 7E0A4105
	v_exp_f32_e32 v6, v6                                       // 00000000A104: 7E0C4106
	v_exp_f32_e32 v7, v7                                       // 00000000A108: 7E0E4107
	v_add_f32_e64 v4, v4, 1.0                                  // 00000000A10C: D1010004 0001E504
	v_add_f32_e64 v5, v5, 1.0                                  // 00000000A114: D1010005 0001E505
	v_add_f32_e64 v6, v6, 1.0                                  // 00000000A11C: D1010006 0001E506
	v_add_f32_e64 v7, v7, 1.0                                  // 00000000A124: D1010007 0001E507
	v_rcp_f32_e32 v4, v4                                       // 00000000A12C: 7E084504
	v_rcp_f32_e32 v5, v5                                       // 00000000A130: 7E0A4505
	v_rcp_f32_e32 v6, v6                                       // 00000000A134: 7E0C4506
	v_rcp_f32_e32 v7, v7                                       // 00000000A138: 7E0E4507
	v_mul_f32_e32 v96, v96, v4                                 // 00000000A13C: 0AC00960
	v_mul_f32_e32 v97, v97, v5                                 // 00000000A140: 0AC20B61
	v_mul_f32_e32 v98, v98, v6                                 // 00000000A144: 0AC40D62
	v_mul_f32_e32 v99, v99, v7                                 // 00000000A148: 0AC60F63
	v_mul_f32_e32 v96, v96, v160                               // 00000000A14C: 0AC14160
	v_mul_f32_e32 v97, v97, v161                               // 00000000A150: 0AC34361
	v_mul_f32_e32 v98, v98, v162                               // 00000000A154: 0AC54562
	v_mul_f32_e32 v99, v99, v163                               // 00000000A158: 0AC74763
	v_mul_f32_e64 v4, -v100, s6                                // 00000000A15C: D1050004 20000D64
	v_mul_f32_e64 v5, -v101, s6                                // 00000000A164: D1050005 20000D65
	v_mul_f32_e64 v6, -v102, s6                                // 00000000A16C: D1050006 20000D66
	v_mul_f32_e64 v7, -v103, s6                                // 00000000A174: D1050007 20000D67
	v_exp_f32_e32 v4, v4                                       // 00000000A17C: 7E084104
	v_exp_f32_e32 v5, v5                                       // 00000000A180: 7E0A4105
	v_exp_f32_e32 v6, v6                                       // 00000000A184: 7E0C4106
	v_exp_f32_e32 v7, v7                                       // 00000000A188: 7E0E4107
	v_add_f32_e64 v4, v4, 1.0                                  // 00000000A18C: D1010004 0001E504
	v_add_f32_e64 v5, v5, 1.0                                  // 00000000A194: D1010005 0001E505
	v_add_f32_e64 v6, v6, 1.0                                  // 00000000A19C: D1010006 0001E506
	v_add_f32_e64 v7, v7, 1.0                                  // 00000000A1A4: D1010007 0001E507
	v_rcp_f32_e32 v4, v4                                       // 00000000A1AC: 7E084504
	v_rcp_f32_e32 v5, v5                                       // 00000000A1B0: 7E0A4505
	v_rcp_f32_e32 v6, v6                                       // 00000000A1B4: 7E0C4506
	v_rcp_f32_e32 v7, v7                                       // 00000000A1B8: 7E0E4507
	v_mul_f32_e32 v100, v100, v4                               // 00000000A1BC: 0AC80964
	v_mul_f32_e32 v101, v101, v5                               // 00000000A1C0: 0ACA0B65
	v_mul_f32_e32 v102, v102, v6                               // 00000000A1C4: 0ACC0D66
	v_mul_f32_e32 v103, v103, v7                               // 00000000A1C8: 0ACE0F67
	v_mul_f32_e32 v100, v100, v164                             // 00000000A1CC: 0AC94964
	v_mul_f32_e32 v101, v101, v165                             // 00000000A1D0: 0ACB4B65
	v_mul_f32_e32 v102, v102, v166                             // 00000000A1D4: 0ACD4D66
	v_mul_f32_e32 v103, v103, v167                             // 00000000A1D8: 0ACF4F67
	v_mul_f32_e64 v4, -v104, s6                                // 00000000A1DC: D1050004 20000D68
	v_mul_f32_e64 v5, -v105, s6                                // 00000000A1E4: D1050005 20000D69
	v_mul_f32_e64 v6, -v106, s6                                // 00000000A1EC: D1050006 20000D6A
	v_mul_f32_e64 v7, -v107, s6                                // 00000000A1F4: D1050007 20000D6B
	v_exp_f32_e32 v4, v4                                       // 00000000A1FC: 7E084104
	v_exp_f32_e32 v5, v5                                       // 00000000A200: 7E0A4105
	v_exp_f32_e32 v6, v6                                       // 00000000A204: 7E0C4106
	v_exp_f32_e32 v7, v7                                       // 00000000A208: 7E0E4107
	v_add_f32_e64 v4, v4, 1.0                                  // 00000000A20C: D1010004 0001E504
	v_add_f32_e64 v5, v5, 1.0                                  // 00000000A214: D1010005 0001E505
	v_add_f32_e64 v6, v6, 1.0                                  // 00000000A21C: D1010006 0001E506
	v_add_f32_e64 v7, v7, 1.0                                  // 00000000A224: D1010007 0001E507
	v_rcp_f32_e32 v4, v4                                       // 00000000A22C: 7E084504
	v_rcp_f32_e32 v5, v5                                       // 00000000A230: 7E0A4505
	v_rcp_f32_e32 v6, v6                                       // 00000000A234: 7E0C4506
	v_rcp_f32_e32 v7, v7                                       // 00000000A238: 7E0E4507
	v_mul_f32_e32 v104, v104, v4                               // 00000000A23C: 0AD00968
	v_mul_f32_e32 v105, v105, v5                               // 00000000A240: 0AD20B69
	v_mul_f32_e32 v106, v106, v6                               // 00000000A244: 0AD40D6A
	v_mul_f32_e32 v107, v107, v7                               // 00000000A248: 0AD60F6B
	v_mul_f32_e32 v104, v104, v168                             // 00000000A24C: 0AD15168
	v_mul_f32_e32 v105, v105, v169                             // 00000000A250: 0AD35369
	v_mul_f32_e32 v106, v106, v170                             // 00000000A254: 0AD5556A
	v_mul_f32_e32 v107, v107, v171                             // 00000000A258: 0AD7576B
	v_mul_f32_e64 v4, -v108, s6                                // 00000000A25C: D1050004 20000D6C
	v_mul_f32_e64 v5, -v109, s6                                // 00000000A264: D1050005 20000D6D
	v_mul_f32_e64 v6, -v110, s6                                // 00000000A26C: D1050006 20000D6E
	v_mul_f32_e64 v7, -v111, s6                                // 00000000A274: D1050007 20000D6F
	v_exp_f32_e32 v4, v4                                       // 00000000A27C: 7E084104
	v_exp_f32_e32 v5, v5                                       // 00000000A280: 7E0A4105
	v_exp_f32_e32 v6, v6                                       // 00000000A284: 7E0C4106
	v_exp_f32_e32 v7, v7                                       // 00000000A288: 7E0E4107
	v_add_f32_e64 v4, v4, 1.0                                  // 00000000A28C: D1010004 0001E504
	v_add_f32_e64 v5, v5, 1.0                                  // 00000000A294: D1010005 0001E505
	v_add_f32_e64 v6, v6, 1.0                                  // 00000000A29C: D1010006 0001E506
	v_add_f32_e64 v7, v7, 1.0                                  // 00000000A2A4: D1010007 0001E507
	v_rcp_f32_e32 v4, v4                                       // 00000000A2AC: 7E084504
	v_rcp_f32_e32 v5, v5                                       // 00000000A2B0: 7E0A4505
	v_rcp_f32_e32 v6, v6                                       // 00000000A2B4: 7E0C4506
	v_rcp_f32_e32 v7, v7                                       // 00000000A2B8: 7E0E4507
	v_mul_f32_e32 v108, v108, v4                               // 00000000A2BC: 0AD8096C
	v_mul_f32_e32 v109, v109, v5                               // 00000000A2C0: 0ADA0B6D
	v_mul_f32_e32 v110, v110, v6                               // 00000000A2C4: 0ADC0D6E
	v_mul_f32_e32 v111, v111, v7                               // 00000000A2C8: 0ADE0F6F
	v_mul_f32_e32 v108, v108, v172                             // 00000000A2CC: 0AD9596C
	v_mul_f32_e32 v109, v109, v173                             // 00000000A2D0: 0ADB5B6D
	v_mul_f32_e32 v110, v110, v174                             // 00000000A2D4: 0ADD5D6E
	v_mul_f32_e32 v111, v111, v175                             // 00000000A2D8: 0ADF5F6F
	v_mul_f32_e64 v4, -v112, s6                                // 00000000A2DC: D1050004 20000D70
	v_mul_f32_e64 v5, -v113, s6                                // 00000000A2E4: D1050005 20000D71
	v_mul_f32_e64 v6, -v114, s6                                // 00000000A2EC: D1050006 20000D72
	v_mul_f32_e64 v7, -v115, s6                                // 00000000A2F4: D1050007 20000D73
	v_exp_f32_e32 v4, v4                                       // 00000000A2FC: 7E084104
	v_exp_f32_e32 v5, v5                                       // 00000000A300: 7E0A4105
	v_exp_f32_e32 v6, v6                                       // 00000000A304: 7E0C4106
	v_exp_f32_e32 v7, v7                                       // 00000000A308: 7E0E4107
	v_add_f32_e64 v4, v4, 1.0                                  // 00000000A30C: D1010004 0001E504
	v_add_f32_e64 v5, v5, 1.0                                  // 00000000A314: D1010005 0001E505
	v_add_f32_e64 v6, v6, 1.0                                  // 00000000A31C: D1010006 0001E506
	v_add_f32_e64 v7, v7, 1.0                                  // 00000000A324: D1010007 0001E507
	v_rcp_f32_e32 v4, v4                                       // 00000000A32C: 7E084504
	v_rcp_f32_e32 v5, v5                                       // 00000000A330: 7E0A4505
	v_rcp_f32_e32 v6, v6                                       // 00000000A334: 7E0C4506
	v_rcp_f32_e32 v7, v7                                       // 00000000A338: 7E0E4507
	v_mul_f32_e32 v112, v112, v4                               // 00000000A33C: 0AE00970
	v_mul_f32_e32 v113, v113, v5                               // 00000000A340: 0AE20B71
	v_mul_f32_e32 v114, v114, v6                               // 00000000A344: 0AE40D72
	v_mul_f32_e32 v115, v115, v7                               // 00000000A348: 0AE60F73
	v_mul_f32_e32 v112, v112, v176                             // 00000000A34C: 0AE16170
	v_mul_f32_e32 v113, v113, v177                             // 00000000A350: 0AE36371
	v_mul_f32_e32 v114, v114, v178                             // 00000000A354: 0AE56572
	v_mul_f32_e32 v115, v115, v179                             // 00000000A358: 0AE76773
	v_mul_f32_e64 v4, -v116, s6                                // 00000000A35C: D1050004 20000D74
	v_mul_f32_e64 v5, -v117, s6                                // 00000000A364: D1050005 20000D75
	v_mul_f32_e64 v6, -v118, s6                                // 00000000A36C: D1050006 20000D76
	v_mul_f32_e64 v7, -v119, s6                                // 00000000A374: D1050007 20000D77
	v_exp_f32_e32 v4, v4                                       // 00000000A37C: 7E084104
	v_exp_f32_e32 v5, v5                                       // 00000000A380: 7E0A4105
	v_exp_f32_e32 v6, v6                                       // 00000000A384: 7E0C4106
	v_exp_f32_e32 v7, v7                                       // 00000000A388: 7E0E4107
	v_add_f32_e64 v4, v4, 1.0                                  // 00000000A38C: D1010004 0001E504
	v_add_f32_e64 v5, v5, 1.0                                  // 00000000A394: D1010005 0001E505
	v_add_f32_e64 v6, v6, 1.0                                  // 00000000A39C: D1010006 0001E506
	v_add_f32_e64 v7, v7, 1.0                                  // 00000000A3A4: D1010007 0001E507
	v_rcp_f32_e32 v4, v4                                       // 00000000A3AC: 7E084504
	v_rcp_f32_e32 v5, v5                                       // 00000000A3B0: 7E0A4505
	v_rcp_f32_e32 v6, v6                                       // 00000000A3B4: 7E0C4506
	v_rcp_f32_e32 v7, v7                                       // 00000000A3B8: 7E0E4507
	v_mul_f32_e32 v116, v116, v4                               // 00000000A3BC: 0AE80974
	v_mul_f32_e32 v117, v117, v5                               // 00000000A3C0: 0AEA0B75
	v_mul_f32_e32 v118, v118, v6                               // 00000000A3C4: 0AEC0D76
	v_mul_f32_e32 v119, v119, v7                               // 00000000A3C8: 0AEE0F77
	v_mul_f32_e32 v116, v116, v180                             // 00000000A3CC: 0AE96974
	v_mul_f32_e32 v117, v117, v181                             // 00000000A3D0: 0AEB6B75
	v_mul_f32_e32 v118, v118, v182                             // 00000000A3D4: 0AED6D76
	v_mul_f32_e32 v119, v119, v183                             // 00000000A3D8: 0AEF6F77

000000000000a3dc <label_1E7A>:
	v_cmp_u_f32_e64 s[46:47], v56, v56                         // 00000000A3DC: D048002E 00027138
	v_add3_u32 v16, v56, v19, 1                                // 00000000A3E4: D1FF0010 02062738
	v_cndmask_b32_e64 v4, v16, v18, s[46:47]                   // 00000000A3EC: D1000004 00BA2510
	v_cmp_u_f32_e64 s[46:47], v57, v57                         // 00000000A3F4: D048002E 00027339
	v_add3_u32 v16, v57, v19, 1                                // 00000000A3FC: D1FF0010 02062739
	v_cndmask_b32_e64 v5, v16, v18, s[46:47]                   // 00000000A404: D1000005 00BA2510
	v_perm_b32 v56, v5, v4, s52                                // 00000000A40C: D1ED0038 00D20905
	v_cmp_u_f32_e64 s[46:47], v58, v58                         // 00000000A414: D048002E 0002753A
	v_add3_u32 v16, v58, v19, 1                                // 00000000A41C: D1FF0010 0206273A
	v_cndmask_b32_e64 v4, v16, v18, s[46:47]                   // 00000000A424: D1000004 00BA2510
	v_cmp_u_f32_e64 s[46:47], v59, v59                         // 00000000A42C: D048002E 0002773B
	v_add3_u32 v16, v59, v19, 1                                // 00000000A434: D1FF0010 0206273B
	v_cndmask_b32_e64 v5, v16, v18, s[46:47]                   // 00000000A43C: D1000005 00BA2510
	v_perm_b32 v57, v5, v4, s52                                // 00000000A444: D1ED0039 00D20905
	v_cmp_u_f32_e64 s[46:47], v60, v60                         // 00000000A44C: D048002E 0002793C
	v_add3_u32 v16, v60, v19, 1                                // 00000000A454: D1FF0010 0206273C
	v_cndmask_b32_e64 v4, v16, v18, s[46:47]                   // 00000000A45C: D1000004 00BA2510
	v_cmp_u_f32_e64 s[46:47], v61, v61                         // 00000000A464: D048002E 00027B3D
	v_add3_u32 v16, v61, v19, 1                                // 00000000A46C: D1FF0010 0206273D
	v_cndmask_b32_e64 v5, v16, v18, s[46:47]                   // 00000000A474: D1000005 00BA2510
	v_perm_b32 v58, v5, v4, s52                                // 00000000A47C: D1ED003A 00D20905
	v_cmp_u_f32_e64 s[46:47], v62, v62                         // 00000000A484: D048002E 00027D3E
	v_add3_u32 v16, v62, v19, 1                                // 00000000A48C: D1FF0010 0206273E
	v_cndmask_b32_e64 v4, v16, v18, s[46:47]                   // 00000000A494: D1000004 00BA2510
	v_cmp_u_f32_e64 s[46:47], v63, v63                         // 00000000A49C: D048002E 00027F3F
	v_add3_u32 v16, v63, v19, 1                                // 00000000A4A4: D1FF0010 0206273F
	v_cndmask_b32_e64 v5, v16, v18, s[46:47]                   // 00000000A4AC: D1000005 00BA2510
	v_perm_b32 v59, v5, v4, s52                                // 00000000A4B4: D1ED003B 00D20905
	v_cmp_u_f32_e64 s[46:47], v64, v64                         // 00000000A4BC: D048002E 00028140
	v_add3_u32 v16, v64, v19, 1                                // 00000000A4C4: D1FF0010 02062740
	v_cndmask_b32_e64 v4, v16, v18, s[46:47]                   // 00000000A4CC: D1000004 00BA2510
	v_cmp_u_f32_e64 s[46:47], v65, v65                         // 00000000A4D4: D048002E 00028341
	v_add3_u32 v16, v65, v19, 1                                // 00000000A4DC: D1FF0010 02062741
	v_cndmask_b32_e64 v5, v16, v18, s[46:47]                   // 00000000A4E4: D1000005 00BA2510
	v_perm_b32 v60, v5, v4, s52                                // 00000000A4EC: D1ED003C 00D20905
	v_cmp_u_f32_e64 s[46:47], v66, v66                         // 00000000A4F4: D048002E 00028542
	v_add3_u32 v16, v66, v19, 1                                // 00000000A4FC: D1FF0010 02062742
	v_cndmask_b32_e64 v4, v16, v18, s[46:47]                   // 00000000A504: D1000004 00BA2510
	v_cmp_u_f32_e64 s[46:47], v67, v67                         // 00000000A50C: D048002E 00028743
	v_add3_u32 v16, v67, v19, 1                                // 00000000A514: D1FF0010 02062743
	v_cndmask_b32_e64 v5, v16, v18, s[46:47]                   // 00000000A51C: D1000005 00BA2510
	v_perm_b32 v61, v5, v4, s52                                // 00000000A524: D1ED003D 00D20905
	v_cmp_u_f32_e64 s[46:47], v68, v68                         // 00000000A52C: D048002E 00028944
	v_add3_u32 v16, v68, v19, 1                                // 00000000A534: D1FF0010 02062744
	v_cndmask_b32_e64 v4, v16, v18, s[46:47]                   // 00000000A53C: D1000004 00BA2510
	v_cmp_u_f32_e64 s[46:47], v69, v69                         // 00000000A544: D048002E 00028B45
	v_add3_u32 v16, v69, v19, 1                                // 00000000A54C: D1FF0010 02062745
	v_cndmask_b32_e64 v5, v16, v18, s[46:47]                   // 00000000A554: D1000005 00BA2510
	v_perm_b32 v62, v5, v4, s52                                // 00000000A55C: D1ED003E 00D20905
	v_cmp_u_f32_e64 s[46:47], v70, v70                         // 00000000A564: D048002E 00028D46
	v_add3_u32 v16, v70, v19, 1                                // 00000000A56C: D1FF0010 02062746
	v_cndmask_b32_e64 v4, v16, v18, s[46:47]                   // 00000000A574: D1000004 00BA2510
	v_cmp_u_f32_e64 s[46:47], v71, v71                         // 00000000A57C: D048002E 00028F47
	v_add3_u32 v16, v71, v19, 1                                // 00000000A584: D1FF0010 02062747
	v_cndmask_b32_e64 v5, v16, v18, s[46:47]                   // 00000000A58C: D1000005 00BA2510
	v_perm_b32 v63, v5, v4, s52                                // 00000000A594: D1ED003F 00D20905
	v_cmp_u_f32_e64 s[46:47], v72, v72                         // 00000000A59C: D048002E 00029148
	v_add3_u32 v16, v72, v19, 1                                // 00000000A5A4: D1FF0010 02062748
	v_cndmask_b32_e64 v4, v16, v18, s[46:47]                   // 00000000A5AC: D1000004 00BA2510
	v_cmp_u_f32_e64 s[46:47], v73, v73                         // 00000000A5B4: D048002E 00029349
	v_add3_u32 v16, v73, v19, 1                                // 00000000A5BC: D1FF0010 02062749
	v_cndmask_b32_e64 v5, v16, v18, s[46:47]                   // 00000000A5C4: D1000005 00BA2510
	v_perm_b32 v64, v5, v4, s52                                // 00000000A5CC: D1ED0040 00D20905
	v_cmp_u_f32_e64 s[46:47], v74, v74                         // 00000000A5D4: D048002E 0002954A
	v_add3_u32 v16, v74, v19, 1                                // 00000000A5DC: D1FF0010 0206274A
	v_cndmask_b32_e64 v4, v16, v18, s[46:47]                   // 00000000A5E4: D1000004 00BA2510
	v_cmp_u_f32_e64 s[46:47], v75, v75                         // 00000000A5EC: D048002E 0002974B
	v_add3_u32 v16, v75, v19, 1                                // 00000000A5F4: D1FF0010 0206274B
	v_cndmask_b32_e64 v5, v16, v18, s[46:47]                   // 00000000A5FC: D1000005 00BA2510
	v_perm_b32 v65, v5, v4, s52                                // 00000000A604: D1ED0041 00D20905
	v_cmp_u_f32_e64 s[46:47], v76, v76                         // 00000000A60C: D048002E 0002994C
	v_add3_u32 v16, v76, v19, 1                                // 00000000A614: D1FF0010 0206274C
	v_cndmask_b32_e64 v4, v16, v18, s[46:47]                   // 00000000A61C: D1000004 00BA2510
	v_cmp_u_f32_e64 s[46:47], v77, v77                         // 00000000A624: D048002E 00029B4D
	v_add3_u32 v16, v77, v19, 1                                // 00000000A62C: D1FF0010 0206274D
	v_cndmask_b32_e64 v5, v16, v18, s[46:47]                   // 00000000A634: D1000005 00BA2510
	v_perm_b32 v66, v5, v4, s52                                // 00000000A63C: D1ED0042 00D20905
	v_cmp_u_f32_e64 s[46:47], v78, v78                         // 00000000A644: D048002E 00029D4E
	v_add3_u32 v16, v78, v19, 1                                // 00000000A64C: D1FF0010 0206274E
	v_cndmask_b32_e64 v4, v16, v18, s[46:47]                   // 00000000A654: D1000004 00BA2510
	v_cmp_u_f32_e64 s[46:47], v79, v79                         // 00000000A65C: D048002E 00029F4F
	v_add3_u32 v16, v79, v19, 1                                // 00000000A664: D1FF0010 0206274F
	v_cndmask_b32_e64 v5, v16, v18, s[46:47]                   // 00000000A66C: D1000005 00BA2510
	v_perm_b32 v67, v5, v4, s52                                // 00000000A674: D1ED0043 00D20905
	v_cmp_u_f32_e64 s[46:47], v80, v80                         // 00000000A67C: D048002E 0002A150
	v_add3_u32 v16, v80, v19, 1                                // 00000000A684: D1FF0010 02062750
	v_cndmask_b32_e64 v4, v16, v18, s[46:47]                   // 00000000A68C: D1000004 00BA2510
	v_cmp_u_f32_e64 s[46:47], v81, v81                         // 00000000A694: D048002E 0002A351
	v_add3_u32 v16, v81, v19, 1                                // 00000000A69C: D1FF0010 02062751
	v_cndmask_b32_e64 v5, v16, v18, s[46:47]                   // 00000000A6A4: D1000005 00BA2510
	v_perm_b32 v68, v5, v4, s52                                // 00000000A6AC: D1ED0044 00D20905
	v_cmp_u_f32_e64 s[46:47], v82, v82                         // 00000000A6B4: D048002E 0002A552
	v_add3_u32 v16, v82, v19, 1                                // 00000000A6BC: D1FF0010 02062752
	v_cndmask_b32_e64 v4, v16, v18, s[46:47]                   // 00000000A6C4: D1000004 00BA2510
	v_cmp_u_f32_e64 s[46:47], v83, v83                         // 00000000A6CC: D048002E 0002A753
	v_add3_u32 v16, v83, v19, 1                                // 00000000A6D4: D1FF0010 02062753
	v_cndmask_b32_e64 v5, v16, v18, s[46:47]                   // 00000000A6DC: D1000005 00BA2510
	v_perm_b32 v69, v5, v4, s52                                // 00000000A6E4: D1ED0045 00D20905
	v_cmp_u_f32_e64 s[46:47], v84, v84                         // 00000000A6EC: D048002E 0002A954
	v_add3_u32 v16, v84, v19, 1                                // 00000000A6F4: D1FF0010 02062754
	v_cndmask_b32_e64 v4, v16, v18, s[46:47]                   // 00000000A6FC: D1000004 00BA2510
	v_cmp_u_f32_e64 s[46:47], v85, v85                         // 00000000A704: D048002E 0002AB55
	v_add3_u32 v16, v85, v19, 1                                // 00000000A70C: D1FF0010 02062755
	v_cndmask_b32_e64 v5, v16, v18, s[46:47]                   // 00000000A714: D1000005 00BA2510
	v_perm_b32 v70, v5, v4, s52                                // 00000000A71C: D1ED0046 00D20905
	v_cmp_u_f32_e64 s[46:47], v86, v86                         // 00000000A724: D048002E 0002AD56
	v_add3_u32 v16, v86, v19, 1                                // 00000000A72C: D1FF0010 02062756
	v_cndmask_b32_e64 v4, v16, v18, s[46:47]                   // 00000000A734: D1000004 00BA2510
	v_cmp_u_f32_e64 s[46:47], v87, v87                         // 00000000A73C: D048002E 0002AF57
	v_add3_u32 v16, v87, v19, 1                                // 00000000A744: D1FF0010 02062757
	v_cndmask_b32_e64 v5, v16, v18, s[46:47]                   // 00000000A74C: D1000005 00BA2510
	v_perm_b32 v71, v5, v4, s52                                // 00000000A754: D1ED0047 00D20905
	v_cmp_u_f32_e64 s[46:47], v88, v88                         // 00000000A75C: D048002E 0002B158
	v_add3_u32 v16, v88, v19, 1                                // 00000000A764: D1FF0010 02062758
	v_cndmask_b32_e64 v4, v16, v18, s[46:47]                   // 00000000A76C: D1000004 00BA2510
	v_cmp_u_f32_e64 s[46:47], v89, v89                         // 00000000A774: D048002E 0002B359
	v_add3_u32 v16, v89, v19, 1                                // 00000000A77C: D1FF0010 02062759
	v_cndmask_b32_e64 v5, v16, v18, s[46:47]                   // 00000000A784: D1000005 00BA2510
	v_perm_b32 v72, v5, v4, s52                                // 00000000A78C: D1ED0048 00D20905
	v_cmp_u_f32_e64 s[46:47], v90, v90                         // 00000000A794: D048002E 0002B55A
	v_add3_u32 v16, v90, v19, 1                                // 00000000A79C: D1FF0010 0206275A
	v_cndmask_b32_e64 v4, v16, v18, s[46:47]                   // 00000000A7A4: D1000004 00BA2510
	v_cmp_u_f32_e64 s[46:47], v91, v91                         // 00000000A7AC: D048002E 0002B75B
	v_add3_u32 v16, v91, v19, 1                                // 00000000A7B4: D1FF0010 0206275B
	v_cndmask_b32_e64 v5, v16, v18, s[46:47]                   // 00000000A7BC: D1000005 00BA2510
	v_perm_b32 v73, v5, v4, s52                                // 00000000A7C4: D1ED0049 00D20905
	v_cmp_u_f32_e64 s[46:47], v92, v92                         // 00000000A7CC: D048002E 0002B95C
	v_add3_u32 v16, v92, v19, 1                                // 00000000A7D4: D1FF0010 0206275C
	v_cndmask_b32_e64 v4, v16, v18, s[46:47]                   // 00000000A7DC: D1000004 00BA2510
	v_cmp_u_f32_e64 s[46:47], v93, v93                         // 00000000A7E4: D048002E 0002BB5D
	v_add3_u32 v16, v93, v19, 1                                // 00000000A7EC: D1FF0010 0206275D
	v_cndmask_b32_e64 v5, v16, v18, s[46:47]                   // 00000000A7F4: D1000005 00BA2510
	v_perm_b32 v74, v5, v4, s52                                // 00000000A7FC: D1ED004A 00D20905
	v_cmp_u_f32_e64 s[46:47], v94, v94                         // 00000000A804: D048002E 0002BD5E
	v_add3_u32 v16, v94, v19, 1                                // 00000000A80C: D1FF0010 0206275E
	v_cndmask_b32_e64 v4, v16, v18, s[46:47]                   // 00000000A814: D1000004 00BA2510
	v_cmp_u_f32_e64 s[46:47], v95, v95                         // 00000000A81C: D048002E 0002BF5F
	v_add3_u32 v16, v95, v19, 1                                // 00000000A824: D1FF0010 0206275F
	v_cndmask_b32_e64 v5, v16, v18, s[46:47]                   // 00000000A82C: D1000005 00BA2510
	v_perm_b32 v75, v5, v4, s52                                // 00000000A834: D1ED004B 00D20905
	v_cmp_u_f32_e64 s[46:47], v96, v96                         // 00000000A83C: D048002E 0002C160
	v_add3_u32 v16, v96, v19, 1                                // 00000000A844: D1FF0010 02062760
	v_cndmask_b32_e64 v4, v16, v18, s[46:47]                   // 00000000A84C: D1000004 00BA2510
	v_cmp_u_f32_e64 s[46:47], v97, v97                         // 00000000A854: D048002E 0002C361
	v_add3_u32 v16, v97, v19, 1                                // 00000000A85C: D1FF0010 02062761
	v_cndmask_b32_e64 v5, v16, v18, s[46:47]                   // 00000000A864: D1000005 00BA2510
	v_perm_b32 v76, v5, v4, s52                                // 00000000A86C: D1ED004C 00D20905
	v_cmp_u_f32_e64 s[46:47], v98, v98                         // 00000000A874: D048002E 0002C562
	v_add3_u32 v16, v98, v19, 1                                // 00000000A87C: D1FF0010 02062762
	v_cndmask_b32_e64 v4, v16, v18, s[46:47]                   // 00000000A884: D1000004 00BA2510
	v_cmp_u_f32_e64 s[46:47], v99, v99                         // 00000000A88C: D048002E 0002C763
	v_add3_u32 v16, v99, v19, 1                                // 00000000A894: D1FF0010 02062763
	v_cndmask_b32_e64 v5, v16, v18, s[46:47]                   // 00000000A89C: D1000005 00BA2510
	v_perm_b32 v77, v5, v4, s52                                // 00000000A8A4: D1ED004D 00D20905
	v_cmp_u_f32_e64 s[46:47], v100, v100                       // 00000000A8AC: D048002E 0002C964
	v_add3_u32 v16, v100, v19, 1                               // 00000000A8B4: D1FF0010 02062764
	v_cndmask_b32_e64 v4, v16, v18, s[46:47]                   // 00000000A8BC: D1000004 00BA2510
	v_cmp_u_f32_e64 s[46:47], v101, v101                       // 00000000A8C4: D048002E 0002CB65
	v_add3_u32 v16, v101, v19, 1                               // 00000000A8CC: D1FF0010 02062765
	v_cndmask_b32_e64 v5, v16, v18, s[46:47]                   // 00000000A8D4: D1000005 00BA2510
	v_perm_b32 v78, v5, v4, s52                                // 00000000A8DC: D1ED004E 00D20905
	v_cmp_u_f32_e64 s[46:47], v102, v102                       // 00000000A8E4: D048002E 0002CD66
	v_add3_u32 v16, v102, v19, 1                               // 00000000A8EC: D1FF0010 02062766
	v_cndmask_b32_e64 v4, v16, v18, s[46:47]                   // 00000000A8F4: D1000004 00BA2510
	v_cmp_u_f32_e64 s[46:47], v103, v103                       // 00000000A8FC: D048002E 0002CF67
	v_add3_u32 v16, v103, v19, 1                               // 00000000A904: D1FF0010 02062767
	v_cndmask_b32_e64 v5, v16, v18, s[46:47]                   // 00000000A90C: D1000005 00BA2510
	v_perm_b32 v79, v5, v4, s52                                // 00000000A914: D1ED004F 00D20905
	v_cmp_u_f32_e64 s[46:47], v104, v104                       // 00000000A91C: D048002E 0002D168
	v_add3_u32 v16, v104, v19, 1                               // 00000000A924: D1FF0010 02062768
	v_cndmask_b32_e64 v4, v16, v18, s[46:47]                   // 00000000A92C: D1000004 00BA2510
	v_cmp_u_f32_e64 s[46:47], v105, v105                       // 00000000A934: D048002E 0002D369
	v_add3_u32 v16, v105, v19, 1                               // 00000000A93C: D1FF0010 02062769
	v_cndmask_b32_e64 v5, v16, v18, s[46:47]                   // 00000000A944: D1000005 00BA2510
	v_perm_b32 v80, v5, v4, s52                                // 00000000A94C: D1ED0050 00D20905
	v_cmp_u_f32_e64 s[46:47], v106, v106                       // 00000000A954: D048002E 0002D56A
	v_add3_u32 v16, v106, v19, 1                               // 00000000A95C: D1FF0010 0206276A
	v_cndmask_b32_e64 v4, v16, v18, s[46:47]                   // 00000000A964: D1000004 00BA2510
	v_cmp_u_f32_e64 s[46:47], v107, v107                       // 00000000A96C: D048002E 0002D76B
	v_add3_u32 v16, v107, v19, 1                               // 00000000A974: D1FF0010 0206276B
	v_cndmask_b32_e64 v5, v16, v18, s[46:47]                   // 00000000A97C: D1000005 00BA2510
	v_perm_b32 v81, v5, v4, s52                                // 00000000A984: D1ED0051 00D20905
	v_cmp_u_f32_e64 s[46:47], v108, v108                       // 00000000A98C: D048002E 0002D96C
	v_add3_u32 v16, v108, v19, 1                               // 00000000A994: D1FF0010 0206276C
	v_cndmask_b32_e64 v4, v16, v18, s[46:47]                   // 00000000A99C: D1000004 00BA2510
	v_cmp_u_f32_e64 s[46:47], v109, v109                       // 00000000A9A4: D048002E 0002DB6D
	v_add3_u32 v16, v109, v19, 1                               // 00000000A9AC: D1FF0010 0206276D
	v_cndmask_b32_e64 v5, v16, v18, s[46:47]                   // 00000000A9B4: D1000005 00BA2510
	v_perm_b32 v82, v5, v4, s52                                // 00000000A9BC: D1ED0052 00D20905
	v_cmp_u_f32_e64 s[46:47], v110, v110                       // 00000000A9C4: D048002E 0002DD6E
	v_add3_u32 v16, v110, v19, 1                               // 00000000A9CC: D1FF0010 0206276E
	v_cndmask_b32_e64 v4, v16, v18, s[46:47]                   // 00000000A9D4: D1000004 00BA2510
	v_cmp_u_f32_e64 s[46:47], v111, v111                       // 00000000A9DC: D048002E 0002DF6F
	v_add3_u32 v16, v111, v19, 1                               // 00000000A9E4: D1FF0010 0206276F
	v_cndmask_b32_e64 v5, v16, v18, s[46:47]                   // 00000000A9EC: D1000005 00BA2510
	v_perm_b32 v83, v5, v4, s52                                // 00000000A9F4: D1ED0053 00D20905
	v_cmp_u_f32_e64 s[46:47], v112, v112                       // 00000000A9FC: D048002E 0002E170
	v_add3_u32 v16, v112, v19, 1                               // 00000000AA04: D1FF0010 02062770
	v_cndmask_b32_e64 v4, v16, v18, s[46:47]                   // 00000000AA0C: D1000004 00BA2510
	v_cmp_u_f32_e64 s[46:47], v113, v113                       // 00000000AA14: D048002E 0002E371
	v_add3_u32 v16, v113, v19, 1                               // 00000000AA1C: D1FF0010 02062771
	v_cndmask_b32_e64 v5, v16, v18, s[46:47]                   // 00000000AA24: D1000005 00BA2510
	v_perm_b32 v84, v5, v4, s52                                // 00000000AA2C: D1ED0054 00D20905
	v_cmp_u_f32_e64 s[46:47], v114, v114                       // 00000000AA34: D048002E 0002E572
	v_add3_u32 v16, v114, v19, 1                               // 00000000AA3C: D1FF0010 02062772
	v_cndmask_b32_e64 v4, v16, v18, s[46:47]                   // 00000000AA44: D1000004 00BA2510
	v_cmp_u_f32_e64 s[46:47], v115, v115                       // 00000000AA4C: D048002E 0002E773
	v_add3_u32 v16, v115, v19, 1                               // 00000000AA54: D1FF0010 02062773
	v_cndmask_b32_e64 v5, v16, v18, s[46:47]                   // 00000000AA5C: D1000005 00BA2510
	v_perm_b32 v85, v5, v4, s52                                // 00000000AA64: D1ED0055 00D20905
	v_cmp_u_f32_e64 s[46:47], v116, v116                       // 00000000AA6C: D048002E 0002E974
	v_add3_u32 v16, v116, v19, 1                               // 00000000AA74: D1FF0010 02062774
	v_cndmask_b32_e64 v4, v16, v18, s[46:47]                   // 00000000AA7C: D1000004 00BA2510
	v_cmp_u_f32_e64 s[46:47], v117, v117                       // 00000000AA84: D048002E 0002EB75
	v_add3_u32 v16, v117, v19, 1                               // 00000000AA8C: D1FF0010 02062775
	v_cndmask_b32_e64 v5, v16, v18, s[46:47]                   // 00000000AA94: D1000005 00BA2510
	v_perm_b32 v86, v5, v4, s52                                // 00000000AA9C: D1ED0056 00D20905
	v_cmp_u_f32_e64 s[46:47], v118, v118                       // 00000000AAA4: D048002E 0002ED76
	v_add3_u32 v16, v118, v19, 1                               // 00000000AAAC: D1FF0010 02062776
	v_cndmask_b32_e64 v4, v16, v18, s[46:47]                   // 00000000AAB4: D1000004 00BA2510
	v_cmp_u_f32_e64 s[46:47], v119, v119                       // 00000000AABC: D048002E 0002EF77
	v_add3_u32 v16, v119, v19, 1                               // 00000000AAC4: D1FF0010 02062777
	v_cndmask_b32_e64 v5, v16, v18, s[46:47]                   // 00000000AACC: D1000005 00BA2510
	v_perm_b32 v87, v5, v4, s52                                // 00000000AAD4: D1ED0057 00D20905
	ds_write_b64 v20, v[56:57]                                 // 00000000AADC: D89A0000 00003814
	ds_write_b64 v20, v[58:59] offset:8704                     // 00000000AAE4: D89A2200 00003A14
	ds_write_b64 v20, v[60:61] offset:17408                    // 00000000AAEC: D89A4400 00003C14
	ds_write_b64 v20, v[62:63] offset:26112                    // 00000000AAF4: D89A6600 00003E14
	ds_write_b64 v20, v[64:65] offset:2176                     // 00000000AAFC: D89A0880 00004014
	ds_write_b64 v20, v[66:67] offset:10880                    // 00000000AB04: D89A2A80 00004214
	ds_write_b64 v20, v[68:69] offset:19584                    // 00000000AB0C: D89A4C80 00004414
	ds_write_b64 v20, v[70:71] offset:28288                    // 00000000AB14: D89A6E80 00004614
	ds_write_b64 v20, v[72:73] offset:4352                     // 00000000AB1C: D89A1100 00004814
	ds_write_b64 v20, v[74:75] offset:13056                    // 00000000AB24: D89A3300 00004A14
	ds_write_b64 v20, v[76:77] offset:21760                    // 00000000AB2C: D89A5500 00004C14
	ds_write_b64 v20, v[78:79] offset:30464                    // 00000000AB34: D89A7700 00004E14
	ds_write_b64 v20, v[80:81] offset:6528                     // 00000000AB3C: D89A1980 00005014
	ds_write_b64 v20, v[82:83] offset:15232                    // 00000000AB44: D89A3B80 00005214
	ds_write_b64 v20, v[84:85] offset:23936                    // 00000000AB4C: D89A5D80 00005414
	ds_write_b64 v20, v[86:87] offset:32640                    // 00000000AB54: D89A7F80 00005614
	v_lshrrev_b32_e32 v4, 5, v0                                // 00000000AB5C: 20080085
	v_xor_b32_e32 v5, 1, v4                                    // 00000000AB60: 2A0A0881
	s_mul_i32 s60, s65, 2                                      // 00000000AB64: 923C8241
	s_cmp_eq_u32 s88, 0                                        // 00000000AB68: BF068058
	s_cselect_b32 s61, 1, 4                                    // 00000000AB6C: 853D8481
	s_mul_i32 s60, s61, s60                                    // 00000000AB70: 923C3C3D
	v_readlane_b32 s82, v3, 0                                  // 00000000AB74: D2890052 00010103
	s_lshr_b32 s61, s82, 24                                    // 00000000AB7C: 8F3D9852
	s_and_b32 s82, s82, 0xffffff                               // 00000000AB80: 8652FF52 00FFFFFF
	s_mul_i32 s82, s82, s71                                    // 00000000AB88: 92524752
	s_mul_i32 s61, s60, s61                                    // 00000000AB8C: 923D3D3C
	s_add_u32 s82, s82, s61                                    // 00000000AB90: 80523D52
	v_mul_lo_u32 v6, v5, s82                                   // 00000000AB94: D2850006 0000A505
	v_readlane_b32 s82, v3, 1                                  // 00000000AB9C: D2890052 00010303
	s_lshr_b32 s61, s82, 24                                    // 00000000ABA4: 8F3D9852
	s_and_b32 s82, s82, 0xffffff                               // 00000000ABA8: 8652FF52 00FFFFFF
	s_mul_i32 s82, s82, s71                                    // 00000000ABB0: 92524752
	s_mul_i32 s61, s60, s61                                    // 00000000ABB4: 923D3D3C
	s_add_u32 s82, s82, s61                                    // 00000000ABB8: 80523D52
	v_mul_lo_u32 v7, v4, s82                                   // 00000000ABBC: D2850007 0000A504
	v_add_u32_e32 v44, v6, v7                                  // 00000000ABC4: 68580F06
	v_readlane_b32 s82, v3, 2                                  // 00000000ABC8: D2890052 00010503
	s_lshr_b32 s61, s82, 24                                    // 00000000ABD0: 8F3D9852
	s_and_b32 s82, s82, 0xffffff                               // 00000000ABD4: 8652FF52 00FFFFFF
	s_mul_i32 s82, s82, s71                                    // 00000000ABDC: 92524752
	s_mul_i32 s61, s60, s61                                    // 00000000ABE0: 923D3D3C
	s_add_u32 s82, s82, s61                                    // 00000000ABE4: 80523D52
	v_mul_lo_u32 v6, v5, s82                                   // 00000000ABE8: D2850006 0000A505
	v_readlane_b32 s82, v3, 3                                  // 00000000ABF0: D2890052 00010703
	s_lshr_b32 s61, s82, 24                                    // 00000000ABF8: 8F3D9852
	s_and_b32 s82, s82, 0xffffff                               // 00000000ABFC: 8652FF52 00FFFFFF
	s_mul_i32 s82, s82, s71                                    // 00000000AC04: 92524752
	s_mul_i32 s61, s60, s61                                    // 00000000AC08: 923D3D3C
	s_add_u32 s82, s82, s61                                    // 00000000AC0C: 80523D52
	v_mul_lo_u32 v7, v4, s82                                   // 00000000AC10: D2850007 0000A504
	v_add_u32_e32 v45, v6, v7                                  // 00000000AC18: 685A0F06
	v_readlane_b32 s82, v3, 4                                  // 00000000AC1C: D2890052 00010903
	s_lshr_b32 s61, s82, 24                                    // 00000000AC24: 8F3D9852
	s_and_b32 s82, s82, 0xffffff                               // 00000000AC28: 8652FF52 00FFFFFF
	s_mul_i32 s82, s82, s71                                    // 00000000AC30: 92524752
	s_mul_i32 s61, s60, s61                                    // 00000000AC34: 923D3D3C
	s_add_u32 s82, s82, s61                                    // 00000000AC38: 80523D52
	v_mul_lo_u32 v6, v5, s82                                   // 00000000AC3C: D2850006 0000A505
	v_readlane_b32 s82, v3, 5                                  // 00000000AC44: D2890052 00010B03
	s_lshr_b32 s61, s82, 24                                    // 00000000AC4C: 8F3D9852
	s_and_b32 s82, s82, 0xffffff                               // 00000000AC50: 8652FF52 00FFFFFF
	s_mul_i32 s82, s82, s71                                    // 00000000AC58: 92524752
	s_mul_i32 s61, s60, s61                                    // 00000000AC5C: 923D3D3C
	s_add_u32 s82, s82, s61                                    // 00000000AC60: 80523D52
	v_mul_lo_u32 v7, v4, s82                                   // 00000000AC64: D2850007 0000A504
	v_add_u32_e32 v46, v6, v7                                  // 00000000AC6C: 685C0F06
	v_readlane_b32 s82, v3, 6                                  // 00000000AC70: D2890052 00010D03
	s_lshr_b32 s61, s82, 24                                    // 00000000AC78: 8F3D9852
	s_and_b32 s82, s82, 0xffffff                               // 00000000AC7C: 8652FF52 00FFFFFF
	s_mul_i32 s82, s82, s71                                    // 00000000AC84: 92524752
	s_mul_i32 s61, s60, s61                                    // 00000000AC88: 923D3D3C
	s_add_u32 s82, s82, s61                                    // 00000000AC8C: 80523D52
	v_mul_lo_u32 v6, v5, s82                                   // 00000000AC90: D2850006 0000A505
	v_readlane_b32 s82, v3, 7                                  // 00000000AC98: D2890052 00010F03
	s_lshr_b32 s61, s82, 24                                    // 00000000ACA0: 8F3D9852
	s_and_b32 s82, s82, 0xffffff                               // 00000000ACA4: 8652FF52 00FFFFFF
	s_mul_i32 s82, s82, s71                                    // 00000000ACAC: 92524752
	s_mul_i32 s61, s60, s61                                    // 00000000ACB0: 923D3D3C
	s_add_u32 s82, s82, s61                                    // 00000000ACB4: 80523D52
	v_mul_lo_u32 v7, v4, s82                                   // 00000000ACB8: D2850007 0000A504
	v_add_u32_e32 v47, v6, v7                                  // 00000000ACC0: 685E0F06
	v_readlane_b32 s82, v3, 8                                  // 00000000ACC4: D2890052 00011103
	s_lshr_b32 s61, s82, 24                                    // 00000000ACCC: 8F3D9852
	s_and_b32 s82, s82, 0xffffff                               // 00000000ACD0: 8652FF52 00FFFFFF
	s_mul_i32 s82, s82, s71                                    // 00000000ACD8: 92524752
	s_mul_i32 s61, s60, s61                                    // 00000000ACDC: 923D3D3C
	s_add_u32 s82, s82, s61                                    // 00000000ACE0: 80523D52
	v_mul_lo_u32 v6, v5, s82                                   // 00000000ACE4: D2850006 0000A505
	v_readlane_b32 s82, v3, 9                                  // 00000000ACEC: D2890052 00011303
	s_lshr_b32 s61, s82, 24                                    // 00000000ACF4: 8F3D9852
	s_and_b32 s82, s82, 0xffffff                               // 00000000ACF8: 8652FF52 00FFFFFF
	s_mul_i32 s82, s82, s71                                    // 00000000AD00: 92524752
	s_mul_i32 s61, s60, s61                                    // 00000000AD04: 923D3D3C
	s_add_u32 s82, s82, s61                                    // 00000000AD08: 80523D52
	v_mul_lo_u32 v7, v4, s82                                   // 00000000AD0C: D2850007 0000A504
	v_add_u32_e32 v48, v6, v7                                  // 00000000AD14: 68600F06
	v_readlane_b32 s82, v3, 10                                 // 00000000AD18: D2890052 00011503
	s_lshr_b32 s61, s82, 24                                    // 00000000AD20: 8F3D9852
	s_and_b32 s82, s82, 0xffffff                               // 00000000AD24: 8652FF52 00FFFFFF
	s_mul_i32 s82, s82, s71                                    // 00000000AD2C: 92524752
	s_mul_i32 s61, s60, s61                                    // 00000000AD30: 923D3D3C
	s_add_u32 s82, s82, s61                                    // 00000000AD34: 80523D52
	v_mul_lo_u32 v6, v5, s82                                   // 00000000AD38: D2850006 0000A505
	v_readlane_b32 s82, v3, 11                                 // 00000000AD40: D2890052 00011703
	s_lshr_b32 s61, s82, 24                                    // 00000000AD48: 8F3D9852
	s_and_b32 s82, s82, 0xffffff                               // 00000000AD4C: 8652FF52 00FFFFFF
	s_mul_i32 s82, s82, s71                                    // 00000000AD54: 92524752
	s_mul_i32 s61, s60, s61                                    // 00000000AD58: 923D3D3C
	s_add_u32 s82, s82, s61                                    // 00000000AD5C: 80523D52
	v_mul_lo_u32 v7, v4, s82                                   // 00000000AD60: D2850007 0000A504
	v_add_u32_e32 v49, v6, v7                                  // 00000000AD68: 68620F06
	v_readlane_b32 s82, v3, 12                                 // 00000000AD6C: D2890052 00011903
	s_lshr_b32 s61, s82, 24                                    // 00000000AD74: 8F3D9852
	s_and_b32 s82, s82, 0xffffff                               // 00000000AD78: 8652FF52 00FFFFFF
	s_mul_i32 s82, s82, s71                                    // 00000000AD80: 92524752
	s_mul_i32 s61, s60, s61                                    // 00000000AD84: 923D3D3C
	s_add_u32 s82, s82, s61                                    // 00000000AD88: 80523D52
	v_mul_lo_u32 v6, v5, s82                                   // 00000000AD8C: D2850006 0000A505
	v_readlane_b32 s82, v3, 13                                 // 00000000AD94: D2890052 00011B03
	s_lshr_b32 s61, s82, 24                                    // 00000000AD9C: 8F3D9852
	s_and_b32 s82, s82, 0xffffff                               // 00000000ADA0: 8652FF52 00FFFFFF
	s_mul_i32 s82, s82, s71                                    // 00000000ADA8: 92524752
	s_mul_i32 s61, s60, s61                                    // 00000000ADAC: 923D3D3C
	s_add_u32 s82, s82, s61                                    // 00000000ADB0: 80523D52
	v_mul_lo_u32 v7, v4, s82                                   // 00000000ADB4: D2850007 0000A504
	v_add_u32_e32 v50, v6, v7                                  // 00000000ADBC: 68640F06
	v_readlane_b32 s82, v3, 14                                 // 00000000ADC0: D2890052 00011D03
	s_lshr_b32 s61, s82, 24                                    // 00000000ADC8: 8F3D9852
	s_and_b32 s82, s82, 0xffffff                               // 00000000ADCC: 8652FF52 00FFFFFF
	s_mul_i32 s82, s82, s71                                    // 00000000ADD4: 92524752
	s_mul_i32 s61, s60, s61                                    // 00000000ADD8: 923D3D3C
	s_add_u32 s82, s82, s61                                    // 00000000ADDC: 80523D52
	v_mul_lo_u32 v6, v5, s82                                   // 00000000ADE0: D2850006 0000A505
	v_readlane_b32 s82, v3, 15                                 // 00000000ADE8: D2890052 00011F03
	s_lshr_b32 s61, s82, 24                                    // 00000000ADF0: 8F3D9852
	s_and_b32 s82, s82, 0xffffff                               // 00000000ADF4: 8652FF52 00FFFFFF
	s_mul_i32 s82, s82, s71                                    // 00000000ADFC: 92524752
	s_mul_i32 s61, s60, s61                                    // 00000000AE00: 923D3D3C
	s_add_u32 s82, s82, s61                                    // 00000000AE04: 80523D52
	v_mul_lo_u32 v7, v4, s82                                   // 00000000AE08: D2850007 0000A504
	v_add_u32_e32 v51, v6, v7                                  // 00000000AE10: 68660F06
	v_and_b32_e32 v4, 31, v0                                   // 00000000AE14: 2608009F
	v_lshrrev_b32_e32 v4, 1, v4                                // 00000000AE18: 20080881
	s_cmp_eq_u32 s88, 0                                        // 00000000AE1C: BF068058
	s_cselect_b32 s61, 2, 4                                    // 00000000AE20: 853D8482
	v_mul_lo_u32 v4, v4, s61                                   // 00000000AE24: D2850004 00007B04
	v_and_b32_e64 v5, v0, 1                                    // 00000000AE2C: D1130005 00010300
	v_add_u32_e32 v4, v4, v5                                   // 00000000AE34: 68080B04
	v_lshlrev_b32_e32 v4, 2, v4                                // 00000000AE38: 24080882
	v_add_u32_e32 v44, v44, v4                                 // 00000000AE3C: 6858092C
	v_add_u32_e32 v45, v45, v4                                 // 00000000AE40: 685A092D
	v_add_u32_e32 v46, v46, v4                                 // 00000000AE44: 685C092E
	v_add_u32_e32 v47, v47, v4                                 // 00000000AE48: 685E092F
	v_add_u32_e32 v48, v48, v4                                 // 00000000AE4C: 68600930
	v_add_u32_e32 v49, v49, v4                                 // 00000000AE50: 68620931
	v_add_u32_e32 v50, v50, v4                                 // 00000000AE54: 68640932
	v_add_u32_e32 v51, v51, v4                                 // 00000000AE58: 68660933
	s_waitcnt lgkmcnt(0)                                       // 00000000AE5C: BF8CC07F
	s_barrier                                                  // 00000000AE60: BF8A0000
	ds_read_b32 v56, v21                                       // 00000000AE64: D86C0000 38000015
	ds_read_b32 v57, v21 offset:64                             // 00000000AE6C: D86C0040 39000015
	ds_read_b32 v58, v21 offset:2176                           // 00000000AE74: D86C0880 3A000015
	ds_read_b32 v59, v21 offset:2240                           // 00000000AE7C: D86C08C0 3B000015
	ds_read_b32 v60, v21 offset:4352                           // 00000000AE84: D86C1100 3C000015
	ds_read_b32 v61, v21 offset:4416                           // 00000000AE8C: D86C1140 3D000015
	ds_read_b32 v62, v21 offset:6528                           // 00000000AE94: D86C1980 3E000015
	ds_read_b32 v63, v21 offset:6592                           // 00000000AE9C: D86C19C0 3F000015
	ds_read_b32 v64, v21 offset:8704                           // 00000000AEA4: D86C2200 40000015
	ds_read_b32 v65, v21 offset:8768                           // 00000000AEAC: D86C2240 41000015
	ds_read_b32 v66, v21 offset:10880                          // 00000000AEB4: D86C2A80 42000015
	ds_read_b32 v67, v21 offset:10944                          // 00000000AEBC: D86C2AC0 43000015
	ds_read_b32 v68, v21 offset:13056                          // 00000000AEC4: D86C3300 44000015
	ds_read_b32 v69, v21 offset:13120                          // 00000000AECC: D86C3340 45000015
	ds_read_b32 v70, v21 offset:15232                          // 00000000AED4: D86C3B80 46000015
	ds_read_b32 v71, v21 offset:15296                          // 00000000AEDC: D86C3BC0 47000015
	ds_read_b32 v72, v21 offset:17408                          // 00000000AEE4: D86C4400 48000015
	ds_read_b32 v73, v21 offset:17472                          // 00000000AEEC: D86C4440 49000015
	ds_read_b32 v74, v21 offset:19584                          // 00000000AEF4: D86C4C80 4A000015
	ds_read_b32 v75, v21 offset:19648                          // 00000000AEFC: D86C4CC0 4B000015
	ds_read_b32 v76, v21 offset:21760                          // 00000000AF04: D86C5500 4C000015
	ds_read_b32 v77, v21 offset:21824                          // 00000000AF0C: D86C5540 4D000015
	ds_read_b32 v78, v21 offset:23936                          // 00000000AF14: D86C5D80 4E000015
	ds_read_b32 v79, v21 offset:24000                          // 00000000AF1C: D86C5DC0 4F000015
	ds_read_b32 v80, v21 offset:26112                          // 00000000AF24: D86C6600 50000015
	ds_read_b32 v81, v21 offset:26176                          // 00000000AF2C: D86C6640 51000015
	ds_read_b32 v82, v21 offset:28288                          // 00000000AF34: D86C6E80 52000015
	ds_read_b32 v83, v21 offset:28352                          // 00000000AF3C: D86C6EC0 53000015
	ds_read_b32 v84, v21 offset:30464                          // 00000000AF44: D86C7700 54000015
	ds_read_b32 v85, v21 offset:30528                          // 00000000AF4C: D86C7740 55000015
	ds_read_b32 v86, v21 offset:32640                          // 00000000AF54: D86C7F80 56000015
	ds_read_b32 v87, v21 offset:32704                          // 00000000AF5C: D86C7FC0 57000015
	s_waitcnt lgkmcnt(0)                                       // 00000000AF64: BF8CC07F
	s_mov_b32 s36, -1                                          // 00000000AF68: BEA400C1
	s_mov_b32 s37, -1                                          // 00000000AF6C: BEA500C1
	v_mov_b32_e32 v7, 0                                        // 00000000AF70: 7E0E0280
	s_or_b32 s9, s9, 0x40000                                   // 00000000AF74: 8709FF09 00040000
	s_mov_b64 exec, s[36:37]                                   // 00000000AF7C: BEFE0124
	v_mov_b32_e32 v6, v44                                      // 00000000AF80: 7E0C032C
	s_mov_b64 s[60:61], 0                                      // 00000000AF84: BEBC0180
	v_readlane_b32 s82, v3, 0                                  // 00000000AF88: D2890052 00010103
	s_and_b32 s82, s82, 0xffffff                               // 00000000AF90: 8652FF52 00FFFFFF
	s_cmp_lt_u32 s82, s66                                      // 00000000AF98: BF0A4252
	s_cselect_b32 s20, s36, s60                                // 00000000AF9C: 85143C24
	v_readlane_b32 s82, v3, 1                                  // 00000000AFA0: D2890052 00010303
	s_and_b32 s82, s82, 0xffffff                               // 00000000AFA8: 8652FF52 00FFFFFF
	s_cmp_lt_u32 s82, s66                                      // 00000000AFB0: BF0A4252
	s_cselect_b32 s21, s36, s60                                // 00000000AFB4: 85153C24
	s_mov_b64 exec, s[20:21]                                   // 00000000AFB8: BEFE0114
	buffer_store_dword v56, v6, s[8:11], 0 offen               // 00000000AFBC: E0701000 80023806
	buffer_store_dword v58, v6, s[8:11], 0 offen offset:128    // 00000000AFC4: E0701080 80023A06
	buffer_store_dword v60, v6, s[8:11], 0 offen offset:256    // 00000000AFCC: E0701100 80023C06
	buffer_store_dword v62, v6, s[8:11], 0 offen offset:384    // 00000000AFD4: E0701180 80023E06
	s_mov_b64 exec, s[36:37]                                   // 00000000AFDC: BEFE0124
	v_mov_b32_e32 v6, v45                                      // 00000000AFE0: 7E0C032D
	s_mov_b64 s[60:61], 0                                      // 00000000AFE4: BEBC0180
	v_readlane_b32 s82, v3, 2                                  // 00000000AFE8: D2890052 00010503
	s_and_b32 s82, s82, 0xffffff                               // 00000000AFF0: 8652FF52 00FFFFFF
	s_cmp_lt_u32 s82, s66                                      // 00000000AFF8: BF0A4252
	s_cselect_b32 s20, s36, s60                                // 00000000AFFC: 85143C24
	v_readlane_b32 s82, v3, 3                                  // 00000000B000: D2890052 00010703
	s_and_b32 s82, s82, 0xffffff                               // 00000000B008: 8652FF52 00FFFFFF
	s_cmp_lt_u32 s82, s66                                      // 00000000B010: BF0A4252
	s_cselect_b32 s21, s36, s60                                // 00000000B014: 85153C24
	s_mov_b64 exec, s[20:21]                                   // 00000000B018: BEFE0114
	buffer_store_dword v57, v6, s[8:11], 0 offen               // 00000000B01C: E0701000 80023906
	buffer_store_dword v59, v6, s[8:11], 0 offen offset:128    // 00000000B024: E0701080 80023B06
	buffer_store_dword v61, v6, s[8:11], 0 offen offset:256    // 00000000B02C: E0701100 80023D06
	buffer_store_dword v63, v6, s[8:11], 0 offen offset:384    // 00000000B034: E0701180 80023F06
	s_mov_b64 exec, s[36:37]                                   // 00000000B03C: BEFE0124
	v_mov_b32_e32 v6, v46                                      // 00000000B040: 7E0C032E
	s_mov_b64 s[60:61], 0                                      // 00000000B044: BEBC0180
	v_readlane_b32 s82, v3, 4                                  // 00000000B048: D2890052 00010903
	s_and_b32 s82, s82, 0xffffff                               // 00000000B050: 8652FF52 00FFFFFF
	s_cmp_lt_u32 s82, s66                                      // 00000000B058: BF0A4252
	s_cselect_b32 s20, s36, s60                                // 00000000B05C: 85143C24
	v_readlane_b32 s82, v3, 5                                  // 00000000B060: D2890052 00010B03
	s_and_b32 s82, s82, 0xffffff                               // 00000000B068: 8652FF52 00FFFFFF
	s_cmp_lt_u32 s82, s66                                      // 00000000B070: BF0A4252
	s_cselect_b32 s21, s36, s60                                // 00000000B074: 85153C24
	s_mov_b64 exec, s[20:21]                                   // 00000000B078: BEFE0114
	buffer_store_dword v64, v6, s[8:11], 0 offen               // 00000000B07C: E0701000 80024006
	buffer_store_dword v66, v6, s[8:11], 0 offen offset:128    // 00000000B084: E0701080 80024206
	buffer_store_dword v68, v6, s[8:11], 0 offen offset:256    // 00000000B08C: E0701100 80024406
	buffer_store_dword v70, v6, s[8:11], 0 offen offset:384    // 00000000B094: E0701180 80024606
	s_mov_b64 exec, s[36:37]                                   // 00000000B09C: BEFE0124
	v_mov_b32_e32 v6, v47                                      // 00000000B0A0: 7E0C032F
	s_mov_b64 s[60:61], 0                                      // 00000000B0A4: BEBC0180
	v_readlane_b32 s82, v3, 6                                  // 00000000B0A8: D2890052 00010D03
	s_and_b32 s82, s82, 0xffffff                               // 00000000B0B0: 8652FF52 00FFFFFF
	s_cmp_lt_u32 s82, s66                                      // 00000000B0B8: BF0A4252
	s_cselect_b32 s20, s36, s60                                // 00000000B0BC: 85143C24
	v_readlane_b32 s82, v3, 7                                  // 00000000B0C0: D2890052 00010F03
	s_and_b32 s82, s82, 0xffffff                               // 00000000B0C8: 8652FF52 00FFFFFF
	s_cmp_lt_u32 s82, s66                                      // 00000000B0D0: BF0A4252
	s_cselect_b32 s21, s36, s60                                // 00000000B0D4: 85153C24
	s_mov_b64 exec, s[20:21]                                   // 00000000B0D8: BEFE0114
	buffer_store_dword v65, v6, s[8:11], 0 offen               // 00000000B0DC: E0701000 80024106
	buffer_store_dword v67, v6, s[8:11], 0 offen offset:128    // 00000000B0E4: E0701080 80024306
	buffer_store_dword v69, v6, s[8:11], 0 offen offset:256    // 00000000B0EC: E0701100 80024506
	buffer_store_dword v71, v6, s[8:11], 0 offen offset:384    // 00000000B0F4: E0701180 80024706
	s_mov_b64 exec, s[36:37]                                   // 00000000B0FC: BEFE0124
	v_mov_b32_e32 v6, v48                                      // 00000000B100: 7E0C0330
	s_mov_b64 s[60:61], 0                                      // 00000000B104: BEBC0180
	v_readlane_b32 s82, v3, 8                                  // 00000000B108: D2890052 00011103
	s_and_b32 s82, s82, 0xffffff                               // 00000000B110: 8652FF52 00FFFFFF
	s_cmp_lt_u32 s82, s66                                      // 00000000B118: BF0A4252
	s_cselect_b32 s20, s36, s60                                // 00000000B11C: 85143C24
	v_readlane_b32 s82, v3, 9                                  // 00000000B120: D2890052 00011303
	s_and_b32 s82, s82, 0xffffff                               // 00000000B128: 8652FF52 00FFFFFF
	s_cmp_lt_u32 s82, s66                                      // 00000000B130: BF0A4252
	s_cselect_b32 s21, s36, s60                                // 00000000B134: 85153C24
	s_mov_b64 exec, s[20:21]                                   // 00000000B138: BEFE0114
	buffer_store_dword v72, v6, s[8:11], 0 offen               // 00000000B13C: E0701000 80024806
	buffer_store_dword v74, v6, s[8:11], 0 offen offset:128    // 00000000B144: E0701080 80024A06
	buffer_store_dword v76, v6, s[8:11], 0 offen offset:256    // 00000000B14C: E0701100 80024C06
	buffer_store_dword v78, v6, s[8:11], 0 offen offset:384    // 00000000B154: E0701180 80024E06
	s_mov_b64 exec, s[36:37]                                   // 00000000B15C: BEFE0124
	v_mov_b32_e32 v6, v49                                      // 00000000B160: 7E0C0331
	s_mov_b64 s[60:61], 0                                      // 00000000B164: BEBC0180
	v_readlane_b32 s82, v3, 10                                 // 00000000B168: D2890052 00011503
	s_and_b32 s82, s82, 0xffffff                               // 00000000B170: 8652FF52 00FFFFFF
	s_cmp_lt_u32 s82, s66                                      // 00000000B178: BF0A4252
	s_cselect_b32 s20, s36, s60                                // 00000000B17C: 85143C24
	v_readlane_b32 s82, v3, 11                                 // 00000000B180: D2890052 00011703
	s_and_b32 s82, s82, 0xffffff                               // 00000000B188: 8652FF52 00FFFFFF
	s_cmp_lt_u32 s82, s66                                      // 00000000B190: BF0A4252
	s_cselect_b32 s21, s36, s60                                // 00000000B194: 85153C24
	s_mov_b64 exec, s[20:21]                                   // 00000000B198: BEFE0114
	buffer_store_dword v73, v6, s[8:11], 0 offen               // 00000000B19C: E0701000 80024906
	buffer_store_dword v75, v6, s[8:11], 0 offen offset:128    // 00000000B1A4: E0701080 80024B06
	buffer_store_dword v77, v6, s[8:11], 0 offen offset:256    // 00000000B1AC: E0701100 80024D06
	buffer_store_dword v79, v6, s[8:11], 0 offen offset:384    // 00000000B1B4: E0701180 80024F06
	s_mov_b64 exec, s[36:37]                                   // 00000000B1BC: BEFE0124
	v_mov_b32_e32 v6, v50                                      // 00000000B1C0: 7E0C0332
	s_mov_b64 s[60:61], 0                                      // 00000000B1C4: BEBC0180
	v_readlane_b32 s82, v3, 12                                 // 00000000B1C8: D2890052 00011903
	s_and_b32 s82, s82, 0xffffff                               // 00000000B1D0: 8652FF52 00FFFFFF
	s_cmp_lt_u32 s82, s66                                      // 00000000B1D8: BF0A4252
	s_cselect_b32 s20, s36, s60                                // 00000000B1DC: 85143C24
	v_readlane_b32 s82, v3, 13                                 // 00000000B1E0: D2890052 00011B03
	s_and_b32 s82, s82, 0xffffff                               // 00000000B1E8: 8652FF52 00FFFFFF
	s_cmp_lt_u32 s82, s66                                      // 00000000B1F0: BF0A4252
	s_cselect_b32 s21, s36, s60                                // 00000000B1F4: 85153C24
	s_mov_b64 exec, s[20:21]                                   // 00000000B1F8: BEFE0114
	buffer_store_dword v80, v6, s[8:11], 0 offen               // 00000000B1FC: E0701000 80025006
	buffer_store_dword v82, v6, s[8:11], 0 offen offset:128    // 00000000B204: E0701080 80025206
	buffer_store_dword v84, v6, s[8:11], 0 offen offset:256    // 00000000B20C: E0701100 80025406
	buffer_store_dword v86, v6, s[8:11], 0 offen offset:384    // 00000000B214: E0701180 80025606
	s_mov_b64 exec, s[36:37]                                   // 00000000B21C: BEFE0124
	v_mov_b32_e32 v6, v51                                      // 00000000B220: 7E0C0333
	s_mov_b64 s[60:61], 0                                      // 00000000B224: BEBC0180
	v_readlane_b32 s82, v3, 14                                 // 00000000B228: D2890052 00011D03
	s_and_b32 s82, s82, 0xffffff                               // 00000000B230: 8652FF52 00FFFFFF
	s_cmp_lt_u32 s82, s66                                      // 00000000B238: BF0A4252
	s_cselect_b32 s20, s36, s60                                // 00000000B23C: 85143C24
	v_readlane_b32 s82, v3, 15                                 // 00000000B240: D2890052 00011F03
	s_and_b32 s82, s82, 0xffffff                               // 00000000B248: 8652FF52 00FFFFFF
	s_cmp_lt_u32 s82, s66                                      // 00000000B250: BF0A4252
	s_cselect_b32 s21, s36, s60                                // 00000000B254: 85153C24
	s_mov_b64 exec, s[20:21]                                   // 00000000B258: BEFE0114
	buffer_store_dword v81, v6, s[8:11], 0 offen               // 00000000B25C: E0701000 80025106
	buffer_store_dword v83, v6, s[8:11], 0 offen offset:128    // 00000000B264: E0701080 80025306
	buffer_store_dword v85, v6, s[8:11], 0 offen offset:256    // 00000000B26C: E0701100 80025506
	buffer_store_dword v87, v6, s[8:11], 0 offen offset:384    // 00000000B274: E0701180 80025706
	s_mov_b64 exec, s[36:37]                                   // 00000000B27C: BEFE0124
	s_branch label_277E                                        // 00000000B280: BF82055A

000000000000b284 <label_2224>:
	ds_write_b64 v20, v[56:57]                                 // 00000000B284: D89A0000 00003814
	ds_write_b64 v20, v[60:61] offset:8704                     // 00000000B28C: D89A2200 00003C14
	ds_write_b64 v20, v[64:65] offset:17408                    // 00000000B294: D89A4400 00004014
	ds_write_b64 v20, v[68:69] offset:26112                    // 00000000B29C: D89A6600 00004414
	ds_write_b64 v20, v[72:73] offset:2176                     // 00000000B2A4: D89A0880 00004814
	ds_write_b64 v20, v[76:77] offset:10880                    // 00000000B2AC: D89A2A80 00004C14
	ds_write_b64 v20, v[80:81] offset:19584                    // 00000000B2B4: D89A4C80 00005014
	ds_write_b64 v20, v[84:85] offset:28288                    // 00000000B2BC: D89A6E80 00005414
	ds_write_b64 v20, v[88:89] offset:4352                     // 00000000B2C4: D89A1100 00005814
	ds_write_b64 v20, v[92:93] offset:13056                    // 00000000B2CC: D89A3300 00005C14
	ds_write_b64 v20, v[96:97] offset:21760                    // 00000000B2D4: D89A5500 00006014
	ds_write_b64 v20, v[100:101] offset:30464                  // 00000000B2DC: D89A7700 00006414
	ds_write_b64 v20, v[104:105] offset:6528                   // 00000000B2E4: D89A1980 00006814
	ds_write_b64 v20, v[108:109] offset:15232                  // 00000000B2EC: D89A3B80 00006C14
	ds_write_b64 v20, v[112:113] offset:23936                  // 00000000B2F4: D89A5D80 00007014
	ds_write_b64 v20, v[116:117] offset:32640                  // 00000000B2FC: D89A7F80 00007414
	v_lshrrev_b32_e32 v4, 5, v0                                // 00000000B304: 20080085
	v_xor_b32_e32 v5, 1, v4                                    // 00000000B308: 2A0A0881
	s_mul_i32 s60, s65, 2                                      // 00000000B30C: 923C8241
	s_cmp_eq_u32 s88, 0                                        // 00000000B310: BF068058
	s_cselect_b32 s61, 1, 4                                    // 00000000B314: 853D8481
	s_mul_i32 s60, s61, s60                                    // 00000000B318: 923C3C3D
	v_readlane_b32 s82, v3, 0                                  // 00000000B31C: D2890052 00010103
	s_lshr_b32 s61, s82, 24                                    // 00000000B324: 8F3D9852
	s_and_b32 s82, s82, 0xffffff                               // 00000000B328: 8652FF52 00FFFFFF
	s_mul_i32 s82, s82, s71                                    // 00000000B330: 92524752
	s_mul_i32 s61, s60, s61                                    // 00000000B334: 923D3D3C
	s_add_u32 s82, s82, s61                                    // 00000000B338: 80523D52
	v_mul_lo_u32 v6, v5, s82                                   // 00000000B33C: D2850006 0000A505
	v_readlane_b32 s82, v3, 1                                  // 00000000B344: D2890052 00010303
	s_lshr_b32 s61, s82, 24                                    // 00000000B34C: 8F3D9852
	s_and_b32 s82, s82, 0xffffff                               // 00000000B350: 8652FF52 00FFFFFF
	s_mul_i32 s82, s82, s71                                    // 00000000B358: 92524752
	s_mul_i32 s61, s60, s61                                    // 00000000B35C: 923D3D3C
	s_add_u32 s82, s82, s61                                    // 00000000B360: 80523D52
	v_mul_lo_u32 v7, v4, s82                                   // 00000000B364: D2850007 0000A504
	v_add_u32_e32 v44, v6, v7                                  // 00000000B36C: 68580F06
	v_readlane_b32 s82, v3, 2                                  // 00000000B370: D2890052 00010503
	s_lshr_b32 s61, s82, 24                                    // 00000000B378: 8F3D9852
	s_and_b32 s82, s82, 0xffffff                               // 00000000B37C: 8652FF52 00FFFFFF
	s_mul_i32 s82, s82, s71                                    // 00000000B384: 92524752
	s_mul_i32 s61, s60, s61                                    // 00000000B388: 923D3D3C
	s_add_u32 s82, s82, s61                                    // 00000000B38C: 80523D52
	v_mul_lo_u32 v6, v5, s82                                   // 00000000B390: D2850006 0000A505
	v_readlane_b32 s82, v3, 3                                  // 00000000B398: D2890052 00010703
	s_lshr_b32 s61, s82, 24                                    // 00000000B3A0: 8F3D9852
	s_and_b32 s82, s82, 0xffffff                               // 00000000B3A4: 8652FF52 00FFFFFF
	s_mul_i32 s82, s82, s71                                    // 00000000B3AC: 92524752
	s_mul_i32 s61, s60, s61                                    // 00000000B3B0: 923D3D3C
	s_add_u32 s82, s82, s61                                    // 00000000B3B4: 80523D52
	v_mul_lo_u32 v7, v4, s82                                   // 00000000B3B8: D2850007 0000A504
	v_add_u32_e32 v45, v6, v7                                  // 00000000B3C0: 685A0F06
	v_readlane_b32 s82, v3, 4                                  // 00000000B3C4: D2890052 00010903
	s_lshr_b32 s61, s82, 24                                    // 00000000B3CC: 8F3D9852
	s_and_b32 s82, s82, 0xffffff                               // 00000000B3D0: 8652FF52 00FFFFFF
	s_mul_i32 s82, s82, s71                                    // 00000000B3D8: 92524752
	s_mul_i32 s61, s60, s61                                    // 00000000B3DC: 923D3D3C
	s_add_u32 s82, s82, s61                                    // 00000000B3E0: 80523D52
	v_mul_lo_u32 v6, v5, s82                                   // 00000000B3E4: D2850006 0000A505
	v_readlane_b32 s82, v3, 5                                  // 00000000B3EC: D2890052 00010B03
	s_lshr_b32 s61, s82, 24                                    // 00000000B3F4: 8F3D9852
	s_and_b32 s82, s82, 0xffffff                               // 00000000B3F8: 8652FF52 00FFFFFF
	s_mul_i32 s82, s82, s71                                    // 00000000B400: 92524752
	s_mul_i32 s61, s60, s61                                    // 00000000B404: 923D3D3C
	s_add_u32 s82, s82, s61                                    // 00000000B408: 80523D52
	v_mul_lo_u32 v7, v4, s82                                   // 00000000B40C: D2850007 0000A504
	v_add_u32_e32 v46, v6, v7                                  // 00000000B414: 685C0F06
	v_readlane_b32 s82, v3, 6                                  // 00000000B418: D2890052 00010D03
	s_lshr_b32 s61, s82, 24                                    // 00000000B420: 8F3D9852
	s_and_b32 s82, s82, 0xffffff                               // 00000000B424: 8652FF52 00FFFFFF
	s_mul_i32 s82, s82, s71                                    // 00000000B42C: 92524752
	s_mul_i32 s61, s60, s61                                    // 00000000B430: 923D3D3C
	s_add_u32 s82, s82, s61                                    // 00000000B434: 80523D52
	v_mul_lo_u32 v6, v5, s82                                   // 00000000B438: D2850006 0000A505
	v_readlane_b32 s82, v3, 7                                  // 00000000B440: D2890052 00010F03
	s_lshr_b32 s61, s82, 24                                    // 00000000B448: 8F3D9852
	s_and_b32 s82, s82, 0xffffff                               // 00000000B44C: 8652FF52 00FFFFFF
	s_mul_i32 s82, s82, s71                                    // 00000000B454: 92524752
	s_mul_i32 s61, s60, s61                                    // 00000000B458: 923D3D3C
	s_add_u32 s82, s82, s61                                    // 00000000B45C: 80523D52
	v_mul_lo_u32 v7, v4, s82                                   // 00000000B460: D2850007 0000A504
	v_add_u32_e32 v47, v6, v7                                  // 00000000B468: 685E0F06
	v_readlane_b32 s82, v3, 8                                  // 00000000B46C: D2890052 00011103
	s_lshr_b32 s61, s82, 24                                    // 00000000B474: 8F3D9852
	s_and_b32 s82, s82, 0xffffff                               // 00000000B478: 8652FF52 00FFFFFF
	s_mul_i32 s82, s82, s71                                    // 00000000B480: 92524752
	s_mul_i32 s61, s60, s61                                    // 00000000B484: 923D3D3C
	s_add_u32 s82, s82, s61                                    // 00000000B488: 80523D52
	v_mul_lo_u32 v6, v5, s82                                   // 00000000B48C: D2850006 0000A505
	v_readlane_b32 s82, v3, 9                                  // 00000000B494: D2890052 00011303
	s_lshr_b32 s61, s82, 24                                    // 00000000B49C: 8F3D9852
	s_and_b32 s82, s82, 0xffffff                               // 00000000B4A0: 8652FF52 00FFFFFF
	s_mul_i32 s82, s82, s71                                    // 00000000B4A8: 92524752
	s_mul_i32 s61, s60, s61                                    // 00000000B4AC: 923D3D3C
	s_add_u32 s82, s82, s61                                    // 00000000B4B0: 80523D52
	v_mul_lo_u32 v7, v4, s82                                   // 00000000B4B4: D2850007 0000A504
	v_add_u32_e32 v48, v6, v7                                  // 00000000B4BC: 68600F06
	v_readlane_b32 s82, v3, 10                                 // 00000000B4C0: D2890052 00011503
	s_lshr_b32 s61, s82, 24                                    // 00000000B4C8: 8F3D9852
	s_and_b32 s82, s82, 0xffffff                               // 00000000B4CC: 8652FF52 00FFFFFF
	s_mul_i32 s82, s82, s71                                    // 00000000B4D4: 92524752
	s_mul_i32 s61, s60, s61                                    // 00000000B4D8: 923D3D3C
	s_add_u32 s82, s82, s61                                    // 00000000B4DC: 80523D52
	v_mul_lo_u32 v6, v5, s82                                   // 00000000B4E0: D2850006 0000A505
	v_readlane_b32 s82, v3, 11                                 // 00000000B4E8: D2890052 00011703
	s_lshr_b32 s61, s82, 24                                    // 00000000B4F0: 8F3D9852
	s_and_b32 s82, s82, 0xffffff                               // 00000000B4F4: 8652FF52 00FFFFFF
	s_mul_i32 s82, s82, s71                                    // 00000000B4FC: 92524752
	s_mul_i32 s61, s60, s61                                    // 00000000B500: 923D3D3C
	s_add_u32 s82, s82, s61                                    // 00000000B504: 80523D52
	v_mul_lo_u32 v7, v4, s82                                   // 00000000B508: D2850007 0000A504
	v_add_u32_e32 v49, v6, v7                                  // 00000000B510: 68620F06
	v_readlane_b32 s82, v3, 12                                 // 00000000B514: D2890052 00011903
	s_lshr_b32 s61, s82, 24                                    // 00000000B51C: 8F3D9852
	s_and_b32 s82, s82, 0xffffff                               // 00000000B520: 8652FF52 00FFFFFF
	s_mul_i32 s82, s82, s71                                    // 00000000B528: 92524752
	s_mul_i32 s61, s60, s61                                    // 00000000B52C: 923D3D3C
	s_add_u32 s82, s82, s61                                    // 00000000B530: 80523D52
	v_mul_lo_u32 v6, v5, s82                                   // 00000000B534: D2850006 0000A505
	v_readlane_b32 s82, v3, 13                                 // 00000000B53C: D2890052 00011B03
	s_lshr_b32 s61, s82, 24                                    // 00000000B544: 8F3D9852
	s_and_b32 s82, s82, 0xffffff                               // 00000000B548: 8652FF52 00FFFFFF
	s_mul_i32 s82, s82, s71                                    // 00000000B550: 92524752
	s_mul_i32 s61, s60, s61                                    // 00000000B554: 923D3D3C
	s_add_u32 s82, s82, s61                                    // 00000000B558: 80523D52
	v_mul_lo_u32 v7, v4, s82                                   // 00000000B55C: D2850007 0000A504
	v_add_u32_e32 v50, v6, v7                                  // 00000000B564: 68640F06
	v_readlane_b32 s82, v3, 14                                 // 00000000B568: D2890052 00011D03
	s_lshr_b32 s61, s82, 24                                    // 00000000B570: 8F3D9852
	s_and_b32 s82, s82, 0xffffff                               // 00000000B574: 8652FF52 00FFFFFF
	s_mul_i32 s82, s82, s71                                    // 00000000B57C: 92524752
	s_mul_i32 s61, s60, s61                                    // 00000000B580: 923D3D3C
	s_add_u32 s82, s82, s61                                    // 00000000B584: 80523D52
	v_mul_lo_u32 v6, v5, s82                                   // 00000000B588: D2850006 0000A505
	v_readlane_b32 s82, v3, 15                                 // 00000000B590: D2890052 00011F03
	s_lshr_b32 s61, s82, 24                                    // 00000000B598: 8F3D9852
	s_and_b32 s82, s82, 0xffffff                               // 00000000B59C: 8652FF52 00FFFFFF
	s_mul_i32 s82, s82, s71                                    // 00000000B5A4: 92524752
	s_mul_i32 s61, s60, s61                                    // 00000000B5A8: 923D3D3C
	s_add_u32 s82, s82, s61                                    // 00000000B5AC: 80523D52
	v_mul_lo_u32 v7, v4, s82                                   // 00000000B5B0: D2850007 0000A504
	v_add_u32_e32 v51, v6, v7                                  // 00000000B5B8: 68660F06
	v_and_b32_e32 v4, 31, v0                                   // 00000000B5BC: 2608009F
	v_lshrrev_b32_e32 v4, 1, v4                                // 00000000B5C0: 20080881
	s_cmp_eq_u32 s88, 0                                        // 00000000B5C4: BF068058
	s_cselect_b32 s61, 2, 4                                    // 00000000B5C8: 853D8482
	v_mul_lo_u32 v4, v4, s61                                   // 00000000B5CC: D2850004 00007B04
	v_and_b32_e64 v5, v0, 1                                    // 00000000B5D4: D1130005 00010300
	v_add_u32_e32 v4, v4, v5                                   // 00000000B5DC: 68080B04
	v_lshlrev_b32_e32 v4, 2, v4                                // 00000000B5E0: 24080882
	v_add_u32_e32 v44, v44, v4                                 // 00000000B5E4: 6858092C
	v_add_u32_e32 v45, v45, v4                                 // 00000000B5E8: 685A092D
	v_add_u32_e32 v46, v46, v4                                 // 00000000B5EC: 685C092E
	v_add_u32_e32 v47, v47, v4                                 // 00000000B5F0: 685E092F
	v_add_u32_e32 v48, v48, v4                                 // 00000000B5F4: 68600930
	v_add_u32_e32 v49, v49, v4                                 // 00000000B5F8: 68620931
	v_add_u32_e32 v50, v50, v4                                 // 00000000B5FC: 68640932
	v_add_u32_e32 v51, v51, v4                                 // 00000000B600: 68660933
	s_waitcnt lgkmcnt(0)                                       // 00000000B604: BF8CC07F
	s_barrier                                                  // 00000000B608: BF8A0000
	ds_read_b32 v56, v21                                       // 00000000B60C: D86C0000 38000015
	ds_read_b32 v57, v21 offset:64                             // 00000000B614: D86C0040 39000015
	ds_read_b32 v60, v21 offset:2176                           // 00000000B61C: D86C0880 3C000015
	ds_read_b32 v61, v21 offset:2240                           // 00000000B624: D86C08C0 3D000015
	ds_read_b32 v64, v21 offset:4352                           // 00000000B62C: D86C1100 40000015
	ds_read_b32 v65, v21 offset:4416                           // 00000000B634: D86C1140 41000015
	ds_read_b32 v68, v21 offset:6528                           // 00000000B63C: D86C1980 44000015
	ds_read_b32 v69, v21 offset:6592                           // 00000000B644: D86C19C0 45000015
	ds_read_b32 v72, v21 offset:8704                           // 00000000B64C: D86C2200 48000015
	ds_read_b32 v73, v21 offset:8768                           // 00000000B654: D86C2240 49000015
	ds_read_b32 v76, v21 offset:10880                          // 00000000B65C: D86C2A80 4C000015
	ds_read_b32 v77, v21 offset:10944                          // 00000000B664: D86C2AC0 4D000015
	ds_read_b32 v80, v21 offset:13056                          // 00000000B66C: D86C3300 50000015
	ds_read_b32 v81, v21 offset:13120                          // 00000000B674: D86C3340 51000015
	ds_read_b32 v84, v21 offset:15232                          // 00000000B67C: D86C3B80 54000015
	ds_read_b32 v85, v21 offset:15296                          // 00000000B684: D86C3BC0 55000015
	ds_read_b32 v88, v21 offset:17408                          // 00000000B68C: D86C4400 58000015
	ds_read_b32 v89, v21 offset:17472                          // 00000000B694: D86C4440 59000015
	ds_read_b32 v92, v21 offset:19584                          // 00000000B69C: D86C4C80 5C000015
	ds_read_b32 v93, v21 offset:19648                          // 00000000B6A4: D86C4CC0 5D000015
	ds_read_b32 v96, v21 offset:21760                          // 00000000B6AC: D86C5500 60000015
	ds_read_b32 v97, v21 offset:21824                          // 00000000B6B4: D86C5540 61000015
	ds_read_b32 v100, v21 offset:23936                         // 00000000B6BC: D86C5D80 64000015
	ds_read_b32 v101, v21 offset:24000                         // 00000000B6C4: D86C5DC0 65000015
	ds_read_b32 v104, v21 offset:26112                         // 00000000B6CC: D86C6600 68000015
	ds_read_b32 v105, v21 offset:26176                         // 00000000B6D4: D86C6640 69000015
	ds_read_b32 v108, v21 offset:28288                         // 00000000B6DC: D86C6E80 6C000015
	ds_read_b32 v109, v21 offset:28352                         // 00000000B6E4: D86C6EC0 6D000015
	ds_read_b32 v112, v21 offset:30464                         // 00000000B6EC: D86C7700 70000015
	ds_read_b32 v113, v21 offset:30528                         // 00000000B6F4: D86C7740 71000015
	ds_read_b32 v116, v21 offset:32640                         // 00000000B6FC: D86C7F80 74000015
	ds_read_b32 v117, v21 offset:32704                         // 00000000B704: D86C7FC0 75000015
	s_waitcnt lgkmcnt(0)                                       // 00000000B70C: BF8CC07F
	s_mov_b32 s36, -1                                          // 00000000B710: BEA400C1
	s_mov_b32 s37, -1                                          // 00000000B714: BEA500C1
	v_mov_b32_e32 v7, 0                                        // 00000000B718: 7E0E0280
	s_mov_b64 exec, s[36:37]                                   // 00000000B71C: BEFE0124
	v_mov_b32_e32 v6, v44                                      // 00000000B720: 7E0C032C
	s_mov_b64 s[60:61], 0                                      // 00000000B724: BEBC0180
	v_readlane_b32 s82, v3, 0                                  // 00000000B728: D2890052 00010103
	s_and_b32 s82, s82, 0xffffff                               // 00000000B730: 8652FF52 00FFFFFF
	s_cmp_lt_u32 s82, s66                                      // 00000000B738: BF0A4252
	s_cselect_b32 s20, s36, s60                                // 00000000B73C: 85143C24
	v_readlane_b32 s82, v3, 1                                  // 00000000B740: D2890052 00010303
	s_and_b32 s82, s82, 0xffffff                               // 00000000B748: 8652FF52 00FFFFFF
	s_cmp_lt_u32 s82, s66                                      // 00000000B750: BF0A4252
	s_cselect_b32 s21, s36, s60                                // 00000000B754: 85153C24
	s_mov_b64 exec, s[20:21]                                   // 00000000B758: BEFE0114
	global_atomic_add_f32 v6, v56, s[8:9]                      // 00000000B75C: DD348000 00083806
	global_atomic_add_f32 v6, v60, s[8:9] offset:256           // 00000000B764: DD348100 00083C06
	global_atomic_add_f32 v6, v64, s[8:9] offset:512           // 00000000B76C: DD348200 00084006
	global_atomic_add_f32 v6, v68, s[8:9] offset:768           // 00000000B774: DD348300 00084406
	s_mov_b64 exec, s[36:37]                                   // 00000000B77C: BEFE0124
	v_mov_b32_e32 v6, v45                                      // 00000000B780: 7E0C032D
	s_mov_b64 s[60:61], 0                                      // 00000000B784: BEBC0180
	v_readlane_b32 s82, v3, 2                                  // 00000000B788: D2890052 00010503
	s_and_b32 s82, s82, 0xffffff                               // 00000000B790: 8652FF52 00FFFFFF
	s_cmp_lt_u32 s82, s66                                      // 00000000B798: BF0A4252
	s_cselect_b32 s20, s36, s60                                // 00000000B79C: 85143C24
	v_readlane_b32 s82, v3, 3                                  // 00000000B7A0: D2890052 00010703
	s_and_b32 s82, s82, 0xffffff                               // 00000000B7A8: 8652FF52 00FFFFFF
	s_cmp_lt_u32 s82, s66                                      // 00000000B7B0: BF0A4252
	s_cselect_b32 s21, s36, s60                                // 00000000B7B4: 85153C24
	s_mov_b64 exec, s[20:21]                                   // 00000000B7B8: BEFE0114
	global_atomic_add_f32 v6, v57, s[8:9]                      // 00000000B7BC: DD348000 00083906
	global_atomic_add_f32 v6, v61, s[8:9] offset:256           // 00000000B7C4: DD348100 00083D06
	global_atomic_add_f32 v6, v65, s[8:9] offset:512           // 00000000B7CC: DD348200 00084106
	global_atomic_add_f32 v6, v69, s[8:9] offset:768           // 00000000B7D4: DD348300 00084506
	s_mov_b64 exec, s[36:37]                                   // 00000000B7DC: BEFE0124
	v_mov_b32_e32 v6, v46                                      // 00000000B7E0: 7E0C032E
	s_mov_b64 s[60:61], 0                                      // 00000000B7E4: BEBC0180
	v_readlane_b32 s82, v3, 4                                  // 00000000B7E8: D2890052 00010903
	s_and_b32 s82, s82, 0xffffff                               // 00000000B7F0: 8652FF52 00FFFFFF
	s_cmp_lt_u32 s82, s66                                      // 00000000B7F8: BF0A4252
	s_cselect_b32 s20, s36, s60                                // 00000000B7FC: 85143C24
	v_readlane_b32 s82, v3, 5                                  // 00000000B800: D2890052 00010B03
	s_and_b32 s82, s82, 0xffffff                               // 00000000B808: 8652FF52 00FFFFFF
	s_cmp_lt_u32 s82, s66                                      // 00000000B810: BF0A4252
	s_cselect_b32 s21, s36, s60                                // 00000000B814: 85153C24
	s_mov_b64 exec, s[20:21]                                   // 00000000B818: BEFE0114
	global_atomic_add_f32 v6, v72, s[8:9]                      // 00000000B81C: DD348000 00084806
	global_atomic_add_f32 v6, v76, s[8:9] offset:256           // 00000000B824: DD348100 00084C06
	global_atomic_add_f32 v6, v80, s[8:9] offset:512           // 00000000B82C: DD348200 00085006
	global_atomic_add_f32 v6, v84, s[8:9] offset:768           // 00000000B834: DD348300 00085406
	s_mov_b64 exec, s[36:37]                                   // 00000000B83C: BEFE0124
	v_mov_b32_e32 v6, v47                                      // 00000000B840: 7E0C032F
	s_mov_b64 s[60:61], 0                                      // 00000000B844: BEBC0180
	v_readlane_b32 s82, v3, 6                                  // 00000000B848: D2890052 00010D03
	s_and_b32 s82, s82, 0xffffff                               // 00000000B850: 8652FF52 00FFFFFF
	s_cmp_lt_u32 s82, s66                                      // 00000000B858: BF0A4252
	s_cselect_b32 s20, s36, s60                                // 00000000B85C: 85143C24
	v_readlane_b32 s82, v3, 7                                  // 00000000B860: D2890052 00010F03
	s_and_b32 s82, s82, 0xffffff                               // 00000000B868: 8652FF52 00FFFFFF
	s_cmp_lt_u32 s82, s66                                      // 00000000B870: BF0A4252
	s_cselect_b32 s21, s36, s60                                // 00000000B874: 85153C24
	s_mov_b64 exec, s[20:21]                                   // 00000000B878: BEFE0114
	global_atomic_add_f32 v6, v73, s[8:9]                      // 00000000B87C: DD348000 00084906
	global_atomic_add_f32 v6, v77, s[8:9] offset:256           // 00000000B884: DD348100 00084D06
	global_atomic_add_f32 v6, v81, s[8:9] offset:512           // 00000000B88C: DD348200 00085106
	global_atomic_add_f32 v6, v85, s[8:9] offset:768           // 00000000B894: DD348300 00085506
	s_mov_b64 exec, s[36:37]                                   // 00000000B89C: BEFE0124
	v_mov_b32_e32 v6, v48                                      // 00000000B8A0: 7E0C0330
	s_mov_b64 s[60:61], 0                                      // 00000000B8A4: BEBC0180
	v_readlane_b32 s82, v3, 8                                  // 00000000B8A8: D2890052 00011103
	s_and_b32 s82, s82, 0xffffff                               // 00000000B8B0: 8652FF52 00FFFFFF
	s_cmp_lt_u32 s82, s66                                      // 00000000B8B8: BF0A4252
	s_cselect_b32 s20, s36, s60                                // 00000000B8BC: 85143C24
	v_readlane_b32 s82, v3, 9                                  // 00000000B8C0: D2890052 00011303
	s_and_b32 s82, s82, 0xffffff                               // 00000000B8C8: 8652FF52 00FFFFFF
	s_cmp_lt_u32 s82, s66                                      // 00000000B8D0: BF0A4252
	s_cselect_b32 s21, s36, s60                                // 00000000B8D4: 85153C24
	s_mov_b64 exec, s[20:21]                                   // 00000000B8D8: BEFE0114
	global_atomic_add_f32 v6, v88, s[8:9]                      // 00000000B8DC: DD348000 00085806
	global_atomic_add_f32 v6, v92, s[8:9] offset:256           // 00000000B8E4: DD348100 00085C06
	global_atomic_add_f32 v6, v96, s[8:9] offset:512           // 00000000B8EC: DD348200 00086006
	global_atomic_add_f32 v6, v100, s[8:9] offset:768          // 00000000B8F4: DD348300 00086406
	s_mov_b64 exec, s[36:37]                                   // 00000000B8FC: BEFE0124
	v_mov_b32_e32 v6, v49                                      // 00000000B900: 7E0C0331
	s_mov_b64 s[60:61], 0                                      // 00000000B904: BEBC0180
	v_readlane_b32 s82, v3, 10                                 // 00000000B908: D2890052 00011503
	s_and_b32 s82, s82, 0xffffff                               // 00000000B910: 8652FF52 00FFFFFF
	s_cmp_lt_u32 s82, s66                                      // 00000000B918: BF0A4252
	s_cselect_b32 s20, s36, s60                                // 00000000B91C: 85143C24
	v_readlane_b32 s82, v3, 11                                 // 00000000B920: D2890052 00011703
	s_and_b32 s82, s82, 0xffffff                               // 00000000B928: 8652FF52 00FFFFFF
	s_cmp_lt_u32 s82, s66                                      // 00000000B930: BF0A4252
	s_cselect_b32 s21, s36, s60                                // 00000000B934: 85153C24
	s_mov_b64 exec, s[20:21]                                   // 00000000B938: BEFE0114
	global_atomic_add_f32 v6, v89, s[8:9]                      // 00000000B93C: DD348000 00085906
	global_atomic_add_f32 v6, v93, s[8:9] offset:256           // 00000000B944: DD348100 00085D06
	global_atomic_add_f32 v6, v97, s[8:9] offset:512           // 00000000B94C: DD348200 00086106
	global_atomic_add_f32 v6, v101, s[8:9] offset:768          // 00000000B954: DD348300 00086506
	s_mov_b64 exec, s[36:37]                                   // 00000000B95C: BEFE0124
	v_mov_b32_e32 v6, v50                                      // 00000000B960: 7E0C0332
	s_mov_b64 s[60:61], 0                                      // 00000000B964: BEBC0180
	v_readlane_b32 s82, v3, 12                                 // 00000000B968: D2890052 00011903
	s_and_b32 s82, s82, 0xffffff                               // 00000000B970: 8652FF52 00FFFFFF
	s_cmp_lt_u32 s82, s66                                      // 00000000B978: BF0A4252
	s_cselect_b32 s20, s36, s60                                // 00000000B97C: 85143C24
	v_readlane_b32 s82, v3, 13                                 // 00000000B980: D2890052 00011B03
	s_and_b32 s82, s82, 0xffffff                               // 00000000B988: 8652FF52 00FFFFFF
	s_cmp_lt_u32 s82, s66                                      // 00000000B990: BF0A4252
	s_cselect_b32 s21, s36, s60                                // 00000000B994: 85153C24
	s_mov_b64 exec, s[20:21]                                   // 00000000B998: BEFE0114
	global_atomic_add_f32 v6, v104, s[8:9]                     // 00000000B99C: DD348000 00086806
	global_atomic_add_f32 v6, v108, s[8:9] offset:256          // 00000000B9A4: DD348100 00086C06
	global_atomic_add_f32 v6, v112, s[8:9] offset:512          // 00000000B9AC: DD348200 00087006
	global_atomic_add_f32 v6, v116, s[8:9] offset:768          // 00000000B9B4: DD348300 00087406
	s_mov_b64 exec, s[36:37]                                   // 00000000B9BC: BEFE0124
	v_mov_b32_e32 v6, v51                                      // 00000000B9C0: 7E0C0333
	s_mov_b64 s[60:61], 0                                      // 00000000B9C4: BEBC0180
	v_readlane_b32 s82, v3, 14                                 // 00000000B9C8: D2890052 00011D03
	s_and_b32 s82, s82, 0xffffff                               // 00000000B9D0: 8652FF52 00FFFFFF
	s_cmp_lt_u32 s82, s66                                      // 00000000B9D8: BF0A4252
	s_cselect_b32 s20, s36, s60                                // 00000000B9DC: 85143C24
	v_readlane_b32 s82, v3, 15                                 // 00000000B9E0: D2890052 00011F03
	s_and_b32 s82, s82, 0xffffff                               // 00000000B9E8: 8652FF52 00FFFFFF
	s_cmp_lt_u32 s82, s66                                      // 00000000B9F0: BF0A4252
	s_cselect_b32 s21, s36, s60                                // 00000000B9F4: 85153C24
	s_mov_b64 exec, s[20:21]                                   // 00000000B9F8: BEFE0114
	global_atomic_add_f32 v6, v105, s[8:9]                     // 00000000B9FC: DD348000 00086906
	global_atomic_add_f32 v6, v109, s[8:9] offset:256          // 00000000BA04: DD348100 00086D06
	global_atomic_add_f32 v6, v113, s[8:9] offset:512          // 00000000BA0C: DD348200 00087106
	global_atomic_add_f32 v6, v117, s[8:9] offset:768          // 00000000BA14: DD348300 00087506
	s_mov_b64 exec, s[36:37]                                   // 00000000BA1C: BEFE0124
	ds_write_b64 v20, v[58:59]                                 // 00000000BA20: D89A0000 00003A14
	ds_write_b64 v20, v[62:63] offset:8704                     // 00000000BA28: D89A2200 00003E14
	ds_write_b64 v20, v[66:67] offset:17408                    // 00000000BA30: D89A4400 00004214
	ds_write_b64 v20, v[70:71] offset:26112                    // 00000000BA38: D89A6600 00004614
	ds_write_b64 v20, v[74:75] offset:2176                     // 00000000BA40: D89A0880 00004A14
	ds_write_b64 v20, v[78:79] offset:10880                    // 00000000BA48: D89A2A80 00004E14
	ds_write_b64 v20, v[82:83] offset:19584                    // 00000000BA50: D89A4C80 00005214
	ds_write_b64 v20, v[86:87] offset:28288                    // 00000000BA58: D89A6E80 00005614
	ds_write_b64 v20, v[90:91] offset:4352                     // 00000000BA60: D89A1100 00005A14
	ds_write_b64 v20, v[94:95] offset:13056                    // 00000000BA68: D89A3300 00005E14
	ds_write_b64 v20, v[98:99] offset:21760                    // 00000000BA70: D89A5500 00006214
	ds_write_b64 v20, v[102:103] offset:30464                  // 00000000BA78: D89A7700 00006614
	ds_write_b64 v20, v[106:107] offset:6528                   // 00000000BA80: D89A1980 00006A14
	ds_write_b64 v20, v[110:111] offset:15232                  // 00000000BA88: D89A3B80 00006E14
	ds_write_b64 v20, v[114:115] offset:23936                  // 00000000BA90: D89A5D80 00007214
	ds_write_b64 v20, v[118:119] offset:32640                  // 00000000BA98: D89A7F80 00007614
	s_waitcnt lgkmcnt(0)                                       // 00000000BAA0: BF8CC07F
	s_barrier                                                  // 00000000BAA4: BF8A0000
	ds_read_b32 v58, v21                                       // 00000000BAA8: D86C0000 3A000015
	ds_read_b32 v59, v21 offset:64                             // 00000000BAB0: D86C0040 3B000015
	ds_read_b32 v62, v21 offset:2176                           // 00000000BAB8: D86C0880 3E000015
	ds_read_b32 v63, v21 offset:2240                           // 00000000BAC0: D86C08C0 3F000015
	ds_read_b32 v66, v21 offset:4352                           // 00000000BAC8: D86C1100 42000015
	ds_read_b32 v67, v21 offset:4416                           // 00000000BAD0: D86C1140 43000015
	ds_read_b32 v70, v21 offset:6528                           // 00000000BAD8: D86C1980 46000015
	ds_read_b32 v71, v21 offset:6592                           // 00000000BAE0: D86C19C0 47000015
	ds_read_b32 v74, v21 offset:8704                           // 00000000BAE8: D86C2200 4A000015
	ds_read_b32 v75, v21 offset:8768                           // 00000000BAF0: D86C2240 4B000015
	ds_read_b32 v78, v21 offset:10880                          // 00000000BAF8: D86C2A80 4E000015
	ds_read_b32 v79, v21 offset:10944                          // 00000000BB00: D86C2AC0 4F000015
	ds_read_b32 v82, v21 offset:13056                          // 00000000BB08: D86C3300 52000015
	ds_read_b32 v83, v21 offset:13120                          // 00000000BB10: D86C3340 53000015
	ds_read_b32 v86, v21 offset:15232                          // 00000000BB18: D86C3B80 56000015
	ds_read_b32 v87, v21 offset:15296                          // 00000000BB20: D86C3BC0 57000015
	ds_read_b32 v90, v21 offset:17408                          // 00000000BB28: D86C4400 5A000015
	ds_read_b32 v91, v21 offset:17472                          // 00000000BB30: D86C4440 5B000015
	ds_read_b32 v94, v21 offset:19584                          // 00000000BB38: D86C4C80 5E000015
	ds_read_b32 v95, v21 offset:19648                          // 00000000BB40: D86C4CC0 5F000015
	ds_read_b32 v98, v21 offset:21760                          // 00000000BB48: D86C5500 62000015
	ds_read_b32 v99, v21 offset:21824                          // 00000000BB50: D86C5540 63000015
	ds_read_b32 v102, v21 offset:23936                         // 00000000BB58: D86C5D80 66000015
	ds_read_b32 v103, v21 offset:24000                         // 00000000BB60: D86C5DC0 67000015
	ds_read_b32 v106, v21 offset:26112                         // 00000000BB68: D86C6600 6A000015
	ds_read_b32 v107, v21 offset:26176                         // 00000000BB70: D86C6640 6B000015
	ds_read_b32 v110, v21 offset:28288                         // 00000000BB78: D86C6E80 6E000015
	ds_read_b32 v111, v21 offset:28352                         // 00000000BB80: D86C6EC0 6F000015
	ds_read_b32 v114, v21 offset:30464                         // 00000000BB88: D86C7700 72000015
	ds_read_b32 v115, v21 offset:30528                         // 00000000BB90: D86C7740 73000015
	ds_read_b32 v118, v21 offset:32640                         // 00000000BB98: D86C7F80 76000015
	ds_read_b32 v119, v21 offset:32704                         // 00000000BBA0: D86C7FC0 77000015
	s_waitcnt lgkmcnt(0)                                       // 00000000BBA8: BF8CC07F
	v_mov_b32_e32 v7, 0                                        // 00000000BBAC: 7E0E0280
	s_mov_b64 exec, s[36:37]                                   // 00000000BBB0: BEFE0124
	v_mov_b32_e32 v6, v44                                      // 00000000BBB4: 7E0C032C
	s_mov_b64 s[60:61], 0                                      // 00000000BBB8: BEBC0180
	v_readlane_b32 s82, v3, 0                                  // 00000000BBBC: D2890052 00010103
	s_and_b32 s82, s82, 0xffffff                               // 00000000BBC4: 8652FF52 00FFFFFF
	s_cmp_lt_u32 s82, s66                                      // 00000000BBCC: BF0A4252
	s_cselect_b32 s20, s36, s60                                // 00000000BBD0: 85143C24
	v_readlane_b32 s82, v3, 1                                  // 00000000BBD4: D2890052 00010303
	s_and_b32 s82, s82, 0xffffff                               // 00000000BBDC: 8652FF52 00FFFFFF
	s_cmp_lt_u32 s82, s66                                      // 00000000BBE4: BF0A4252
	s_cselect_b32 s21, s36, s60                                // 00000000BBE8: 85153C24
	s_mov_b64 exec, s[20:21]                                   // 00000000BBEC: BEFE0114
	global_atomic_add_f32 v6, v58, s[8:9] offset:8             // 00000000BBF0: DD348008 00083A06
	global_atomic_add_f32 v6, v62, s[8:9] offset:264           // 00000000BBF8: DD348108 00083E06
	global_atomic_add_f32 v6, v66, s[8:9] offset:520           // 00000000BC00: DD348208 00084206
	global_atomic_add_f32 v6, v70, s[8:9] offset:776           // 00000000BC08: DD348308 00084606
	s_mov_b64 exec, s[36:37]                                   // 00000000BC10: BEFE0124
	v_mov_b32_e32 v6, v45                                      // 00000000BC14: 7E0C032D
	s_mov_b64 s[60:61], 0                                      // 00000000BC18: BEBC0180
	v_readlane_b32 s82, v3, 2                                  // 00000000BC1C: D2890052 00010503
	s_and_b32 s82, s82, 0xffffff                               // 00000000BC24: 8652FF52 00FFFFFF
	s_cmp_lt_u32 s82, s66                                      // 00000000BC2C: BF0A4252
	s_cselect_b32 s20, s36, s60                                // 00000000BC30: 85143C24
	v_readlane_b32 s82, v3, 3                                  // 00000000BC34: D2890052 00010703
	s_and_b32 s82, s82, 0xffffff                               // 00000000BC3C: 8652FF52 00FFFFFF
	s_cmp_lt_u32 s82, s66                                      // 00000000BC44: BF0A4252
	s_cselect_b32 s21, s36, s60                                // 00000000BC48: 85153C24
	s_mov_b64 exec, s[20:21]                                   // 00000000BC4C: BEFE0114
	global_atomic_add_f32 v6, v59, s[8:9] offset:8             // 00000000BC50: DD348008 00083B06
	global_atomic_add_f32 v6, v63, s[8:9] offset:264           // 00000000BC58: DD348108 00083F06
	global_atomic_add_f32 v6, v67, s[8:9] offset:520           // 00000000BC60: DD348208 00084306
	global_atomic_add_f32 v6, v71, s[8:9] offset:776           // 00000000BC68: DD348308 00084706
	s_mov_b64 exec, s[36:37]                                   // 00000000BC70: BEFE0124
	v_mov_b32_e32 v6, v46                                      // 00000000BC74: 7E0C032E
	s_mov_b64 s[60:61], 0                                      // 00000000BC78: BEBC0180
	v_readlane_b32 s82, v3, 4                                  // 00000000BC7C: D2890052 00010903
	s_and_b32 s82, s82, 0xffffff                               // 00000000BC84: 8652FF52 00FFFFFF
	s_cmp_lt_u32 s82, s66                                      // 00000000BC8C: BF0A4252
	s_cselect_b32 s20, s36, s60                                // 00000000BC90: 85143C24
	v_readlane_b32 s82, v3, 5                                  // 00000000BC94: D2890052 00010B03
	s_and_b32 s82, s82, 0xffffff                               // 00000000BC9C: 8652FF52 00FFFFFF
	s_cmp_lt_u32 s82, s66                                      // 00000000BCA4: BF0A4252
	s_cselect_b32 s21, s36, s60                                // 00000000BCA8: 85153C24
	s_mov_b64 exec, s[20:21]                                   // 00000000BCAC: BEFE0114
	global_atomic_add_f32 v6, v74, s[8:9] offset:8             // 00000000BCB0: DD348008 00084A06
	global_atomic_add_f32 v6, v78, s[8:9] offset:264           // 00000000BCB8: DD348108 00084E06
	global_atomic_add_f32 v6, v82, s[8:9] offset:520           // 00000000BCC0: DD348208 00085206
	global_atomic_add_f32 v6, v86, s[8:9] offset:776           // 00000000BCC8: DD348308 00085606
	s_mov_b64 exec, s[36:37]                                   // 00000000BCD0: BEFE0124
	v_mov_b32_e32 v6, v47                                      // 00000000BCD4: 7E0C032F
	s_mov_b64 s[60:61], 0                                      // 00000000BCD8: BEBC0180
	v_readlane_b32 s82, v3, 6                                  // 00000000BCDC: D2890052 00010D03
	s_and_b32 s82, s82, 0xffffff                               // 00000000BCE4: 8652FF52 00FFFFFF
	s_cmp_lt_u32 s82, s66                                      // 00000000BCEC: BF0A4252
	s_cselect_b32 s20, s36, s60                                // 00000000BCF0: 85143C24
	v_readlane_b32 s82, v3, 7                                  // 00000000BCF4: D2890052 00010F03
	s_and_b32 s82, s82, 0xffffff                               // 00000000BCFC: 8652FF52 00FFFFFF
	s_cmp_lt_u32 s82, s66                                      // 00000000BD04: BF0A4252
	s_cselect_b32 s21, s36, s60                                // 00000000BD08: 85153C24
	s_mov_b64 exec, s[20:21]                                   // 00000000BD0C: BEFE0114
	global_atomic_add_f32 v6, v75, s[8:9] offset:8             // 00000000BD10: DD348008 00084B06
	global_atomic_add_f32 v6, v79, s[8:9] offset:264           // 00000000BD18: DD348108 00084F06
	global_atomic_add_f32 v6, v83, s[8:9] offset:520           // 00000000BD20: DD348208 00085306
	global_atomic_add_f32 v6, v87, s[8:9] offset:776           // 00000000BD28: DD348308 00085706
	s_mov_b64 exec, s[36:37]                                   // 00000000BD30: BEFE0124
	v_mov_b32_e32 v6, v48                                      // 00000000BD34: 7E0C0330
	s_mov_b64 s[60:61], 0                                      // 00000000BD38: BEBC0180
	v_readlane_b32 s82, v3, 8                                  // 00000000BD3C: D2890052 00011103
	s_and_b32 s82, s82, 0xffffff                               // 00000000BD44: 8652FF52 00FFFFFF
	s_cmp_lt_u32 s82, s66                                      // 00000000BD4C: BF0A4252
	s_cselect_b32 s20, s36, s60                                // 00000000BD50: 85143C24
	v_readlane_b32 s82, v3, 9                                  // 00000000BD54: D2890052 00011303
	s_and_b32 s82, s82, 0xffffff                               // 00000000BD5C: 8652FF52 00FFFFFF
	s_cmp_lt_u32 s82, s66                                      // 00000000BD64: BF0A4252
	s_cselect_b32 s21, s36, s60                                // 00000000BD68: 85153C24
	s_mov_b64 exec, s[20:21]                                   // 00000000BD6C: BEFE0114
	global_atomic_add_f32 v6, v90, s[8:9] offset:8             // 00000000BD70: DD348008 00085A06
	global_atomic_add_f32 v6, v94, s[8:9] offset:264           // 00000000BD78: DD348108 00085E06
	global_atomic_add_f32 v6, v98, s[8:9] offset:520           // 00000000BD80: DD348208 00086206
	global_atomic_add_f32 v6, v102, s[8:9] offset:776          // 00000000BD88: DD348308 00086606
	s_mov_b64 exec, s[36:37]                                   // 00000000BD90: BEFE0124
	v_mov_b32_e32 v6, v49                                      // 00000000BD94: 7E0C0331
	s_mov_b64 s[60:61], 0                                      // 00000000BD98: BEBC0180
	v_readlane_b32 s82, v3, 10                                 // 00000000BD9C: D2890052 00011503
	s_and_b32 s82, s82, 0xffffff                               // 00000000BDA4: 8652FF52 00FFFFFF
	s_cmp_lt_u32 s82, s66                                      // 00000000BDAC: BF0A4252
	s_cselect_b32 s20, s36, s60                                // 00000000BDB0: 85143C24
	v_readlane_b32 s82, v3, 11                                 // 00000000BDB4: D2890052 00011703
	s_and_b32 s82, s82, 0xffffff                               // 00000000BDBC: 8652FF52 00FFFFFF
	s_cmp_lt_u32 s82, s66                                      // 00000000BDC4: BF0A4252
	s_cselect_b32 s21, s36, s60                                // 00000000BDC8: 85153C24
	s_mov_b64 exec, s[20:21]                                   // 00000000BDCC: BEFE0114
	global_atomic_add_f32 v6, v91, s[8:9] offset:8             // 00000000BDD0: DD348008 00085B06
	global_atomic_add_f32 v6, v95, s[8:9] offset:264           // 00000000BDD8: DD348108 00085F06
	global_atomic_add_f32 v6, v99, s[8:9] offset:520           // 00000000BDE0: DD348208 00086306
	global_atomic_add_f32 v6, v103, s[8:9] offset:776          // 00000000BDE8: DD348308 00086706
	s_mov_b64 exec, s[36:37]                                   // 00000000BDF0: BEFE0124
	v_mov_b32_e32 v6, v50                                      // 00000000BDF4: 7E0C0332
	s_mov_b64 s[60:61], 0                                      // 00000000BDF8: BEBC0180
	v_readlane_b32 s82, v3, 12                                 // 00000000BDFC: D2890052 00011903
	s_and_b32 s82, s82, 0xffffff                               // 00000000BE04: 8652FF52 00FFFFFF
	s_cmp_lt_u32 s82, s66                                      // 00000000BE0C: BF0A4252
	s_cselect_b32 s20, s36, s60                                // 00000000BE10: 85143C24
	v_readlane_b32 s82, v3, 13                                 // 00000000BE14: D2890052 00011B03
	s_and_b32 s82, s82, 0xffffff                               // 00000000BE1C: 8652FF52 00FFFFFF
	s_cmp_lt_u32 s82, s66                                      // 00000000BE24: BF0A4252
	s_cselect_b32 s21, s36, s60                                // 00000000BE28: 85153C24
	s_mov_b64 exec, s[20:21]                                   // 00000000BE2C: BEFE0114
	global_atomic_add_f32 v6, v106, s[8:9] offset:8            // 00000000BE30: DD348008 00086A06
	global_atomic_add_f32 v6, v110, s[8:9] offset:264          // 00000000BE38: DD348108 00086E06
	global_atomic_add_f32 v6, v114, s[8:9] offset:520          // 00000000BE40: DD348208 00087206
	global_atomic_add_f32 v6, v118, s[8:9] offset:776          // 00000000BE48: DD348308 00087606
	s_mov_b64 exec, s[36:37]                                   // 00000000BE50: BEFE0124
	v_mov_b32_e32 v6, v51                                      // 00000000BE54: 7E0C0333
	s_mov_b64 s[60:61], 0                                      // 00000000BE58: BEBC0180
	v_readlane_b32 s82, v3, 14                                 // 00000000BE5C: D2890052 00011D03
	s_and_b32 s82, s82, 0xffffff                               // 00000000BE64: 8652FF52 00FFFFFF
	s_cmp_lt_u32 s82, s66                                      // 00000000BE6C: BF0A4252
	s_cselect_b32 s20, s36, s60                                // 00000000BE70: 85143C24
	v_readlane_b32 s82, v3, 15                                 // 00000000BE74: D2890052 00011F03
	s_and_b32 s82, s82, 0xffffff                               // 00000000BE7C: 8652FF52 00FFFFFF
	s_cmp_lt_u32 s82, s66                                      // 00000000BE84: BF0A4252
	s_cselect_b32 s21, s36, s60                                // 00000000BE88: 85153C24
	s_mov_b64 exec, s[20:21]                                   // 00000000BE8C: BEFE0114
	global_atomic_add_f32 v6, v107, s[8:9] offset:8            // 00000000BE90: DD348008 00086B06
	global_atomic_add_f32 v6, v111, s[8:9] offset:264          // 00000000BE98: DD348108 00086F06
	global_atomic_add_f32 v6, v115, s[8:9] offset:520          // 00000000BEA0: DD348208 00087306
	global_atomic_add_f32 v6, v119, s[8:9] offset:776          // 00000000BEA8: DD348308 00087706
	s_mov_b64 exec, s[36:37]                                   // 00000000BEB0: BEFE0124
	ds_write_b64 v20, v[120:121]                               // 00000000BEB4: D89A0000 00007814
	ds_write_b64 v20, v[124:125] offset:8704                   // 00000000BEBC: D89A2200 00007C14
	ds_write_b64 v20, v[128:129] offset:17408                  // 00000000BEC4: D89A4400 00008014
	ds_write_b64 v20, v[132:133] offset:26112                  // 00000000BECC: D89A6600 00008414
	ds_write_b64 v20, v[136:137] offset:2176                   // 00000000BED4: D89A0880 00008814
	ds_write_b64 v20, v[140:141] offset:10880                  // 00000000BEDC: D89A2A80 00008C14
	ds_write_b64 v20, v[144:145] offset:19584                  // 00000000BEE4: D89A4C80 00009014
	ds_write_b64 v20, v[148:149] offset:28288                  // 00000000BEEC: D89A6E80 00009414
	ds_write_b64 v20, v[152:153] offset:4352                   // 00000000BEF4: D89A1100 00009814
	ds_write_b64 v20, v[156:157] offset:13056                  // 00000000BEFC: D89A3300 00009C14
	ds_write_b64 v20, v[160:161] offset:21760                  // 00000000BF04: D89A5500 0000A014
	ds_write_b64 v20, v[164:165] offset:30464                  // 00000000BF0C: D89A7700 0000A414
	ds_write_b64 v20, v[168:169] offset:6528                   // 00000000BF14: D89A1980 0000A814
	ds_write_b64 v20, v[172:173] offset:15232                  // 00000000BF1C: D89A3B80 0000AC14
	ds_write_b64 v20, v[176:177] offset:23936                  // 00000000BF24: D89A5D80 0000B014
	ds_write_b64 v20, v[180:181] offset:32640                  // 00000000BF2C: D89A7F80 0000B414
	s_waitcnt lgkmcnt(0)                                       // 00000000BF34: BF8CC07F
	s_barrier                                                  // 00000000BF38: BF8A0000
	ds_read_b32 v120, v21                                      // 00000000BF3C: D86C0000 78000015
	ds_read_b32 v121, v21 offset:64                            // 00000000BF44: D86C0040 79000015
	ds_read_b32 v124, v21 offset:2176                          // 00000000BF4C: D86C0880 7C000015
	ds_read_b32 v125, v21 offset:2240                          // 00000000BF54: D86C08C0 7D000015
	ds_read_b32 v128, v21 offset:4352                          // 00000000BF5C: D86C1100 80000015
	ds_read_b32 v129, v21 offset:4416                          // 00000000BF64: D86C1140 81000015
	ds_read_b32 v132, v21 offset:6528                          // 00000000BF6C: D86C1980 84000015
	ds_read_b32 v133, v21 offset:6592                          // 00000000BF74: D86C19C0 85000015
	ds_read_b32 v136, v21 offset:8704                          // 00000000BF7C: D86C2200 88000015
	ds_read_b32 v137, v21 offset:8768                          // 00000000BF84: D86C2240 89000015
	ds_read_b32 v140, v21 offset:10880                         // 00000000BF8C: D86C2A80 8C000015
	ds_read_b32 v141, v21 offset:10944                         // 00000000BF94: D86C2AC0 8D000015
	ds_read_b32 v144, v21 offset:13056                         // 00000000BF9C: D86C3300 90000015
	ds_read_b32 v145, v21 offset:13120                         // 00000000BFA4: D86C3340 91000015
	ds_read_b32 v148, v21 offset:15232                         // 00000000BFAC: D86C3B80 94000015
	ds_read_b32 v149, v21 offset:15296                         // 00000000BFB4: D86C3BC0 95000015
	ds_read_b32 v152, v21 offset:17408                         // 00000000BFBC: D86C4400 98000015
	ds_read_b32 v153, v21 offset:17472                         // 00000000BFC4: D86C4440 99000015
	ds_read_b32 v156, v21 offset:19584                         // 00000000BFCC: D86C4C80 9C000015
	ds_read_b32 v157, v21 offset:19648                         // 00000000BFD4: D86C4CC0 9D000015
	ds_read_b32 v160, v21 offset:21760                         // 00000000BFDC: D86C5500 A0000015
	ds_read_b32 v161, v21 offset:21824                         // 00000000BFE4: D86C5540 A1000015
	ds_read_b32 v164, v21 offset:23936                         // 00000000BFEC: D86C5D80 A4000015
	ds_read_b32 v165, v21 offset:24000                         // 00000000BFF4: D86C5DC0 A5000015
	ds_read_b32 v168, v21 offset:26112                         // 00000000BFFC: D86C6600 A8000015
	ds_read_b32 v169, v21 offset:26176                         // 00000000C004: D86C6640 A9000015
	ds_read_b32 v172, v21 offset:28288                         // 00000000C00C: D86C6E80 AC000015
	ds_read_b32 v173, v21 offset:28352                         // 00000000C014: D86C6EC0 AD000015
	ds_read_b32 v176, v21 offset:30464                         // 00000000C01C: D86C7700 B0000015
	ds_read_b32 v177, v21 offset:30528                         // 00000000C024: D86C7740 B1000015
	ds_read_b32 v180, v21 offset:32640                         // 00000000C02C: D86C7F80 B4000015
	ds_read_b32 v181, v21 offset:32704                         // 00000000C034: D86C7FC0 B5000015
	s_mul_i32 s60, s65, 4                                      // 00000000C03C: 923C8441
	s_add_u32 s8, s60, s8                                      // 00000000C040: 8008083C
	s_addc_u32 s9, 0, s9                                       // 00000000C044: 82090980
	s_waitcnt lgkmcnt(0)                                       // 00000000C048: BF8CC07F
	v_mov_b32_e32 v7, 0                                        // 00000000C04C: 7E0E0280
	s_mov_b64 exec, s[36:37]                                   // 00000000C050: BEFE0124
	v_mov_b32_e32 v6, v44                                      // 00000000C054: 7E0C032C
	s_mov_b64 s[60:61], 0                                      // 00000000C058: BEBC0180
	v_readlane_b32 s82, v3, 0                                  // 00000000C05C: D2890052 00010103
	s_and_b32 s82, s82, 0xffffff                               // 00000000C064: 8652FF52 00FFFFFF
	s_cmp_lt_u32 s82, s66                                      // 00000000C06C: BF0A4252
	s_cselect_b32 s20, s36, s60                                // 00000000C070: 85143C24
	v_readlane_b32 s82, v3, 1                                  // 00000000C074: D2890052 00010303
	s_and_b32 s82, s82, 0xffffff                               // 00000000C07C: 8652FF52 00FFFFFF
	s_cmp_lt_u32 s82, s66                                      // 00000000C084: BF0A4252
	s_cselect_b32 s21, s36, s60                                // 00000000C088: 85153C24
	s_mov_b64 exec, s[20:21]                                   // 00000000C08C: BEFE0114
	global_atomic_add_f32 v6, v120, s[8:9]                     // 00000000C090: DD348000 00087806
	global_atomic_add_f32 v6, v124, s[8:9] offset:256          // 00000000C098: DD348100 00087C06
	global_atomic_add_f32 v6, v128, s[8:9] offset:512          // 00000000C0A0: DD348200 00088006
	global_atomic_add_f32 v6, v132, s[8:9] offset:768          // 00000000C0A8: DD348300 00088406
	s_mov_b64 exec, s[36:37]                                   // 00000000C0B0: BEFE0124
	v_mov_b32_e32 v6, v45                                      // 00000000C0B4: 7E0C032D
	s_mov_b64 s[60:61], 0                                      // 00000000C0B8: BEBC0180
	v_readlane_b32 s82, v3, 2                                  // 00000000C0BC: D2890052 00010503
	s_and_b32 s82, s82, 0xffffff                               // 00000000C0C4: 8652FF52 00FFFFFF
	s_cmp_lt_u32 s82, s66                                      // 00000000C0CC: BF0A4252
	s_cselect_b32 s20, s36, s60                                // 00000000C0D0: 85143C24
	v_readlane_b32 s82, v3, 3                                  // 00000000C0D4: D2890052 00010703
	s_and_b32 s82, s82, 0xffffff                               // 00000000C0DC: 8652FF52 00FFFFFF
	s_cmp_lt_u32 s82, s66                                      // 00000000C0E4: BF0A4252
	s_cselect_b32 s21, s36, s60                                // 00000000C0E8: 85153C24
	s_mov_b64 exec, s[20:21]                                   // 00000000C0EC: BEFE0114
	global_atomic_add_f32 v6, v121, s[8:9]                     // 00000000C0F0: DD348000 00087906
	global_atomic_add_f32 v6, v125, s[8:9] offset:256          // 00000000C0F8: DD348100 00087D06
	global_atomic_add_f32 v6, v129, s[8:9] offset:512          // 00000000C100: DD348200 00088106
	global_atomic_add_f32 v6, v133, s[8:9] offset:768          // 00000000C108: DD348300 00088506
	s_mov_b64 exec, s[36:37]                                   // 00000000C110: BEFE0124
	v_mov_b32_e32 v6, v46                                      // 00000000C114: 7E0C032E
	s_mov_b64 s[60:61], 0                                      // 00000000C118: BEBC0180
	v_readlane_b32 s82, v3, 4                                  // 00000000C11C: D2890052 00010903
	s_and_b32 s82, s82, 0xffffff                               // 00000000C124: 8652FF52 00FFFFFF
	s_cmp_lt_u32 s82, s66                                      // 00000000C12C: BF0A4252
	s_cselect_b32 s20, s36, s60                                // 00000000C130: 85143C24
	v_readlane_b32 s82, v3, 5                                  // 00000000C134: D2890052 00010B03
	s_and_b32 s82, s82, 0xffffff                               // 00000000C13C: 8652FF52 00FFFFFF
	s_cmp_lt_u32 s82, s66                                      // 00000000C144: BF0A4252
	s_cselect_b32 s21, s36, s60                                // 00000000C148: 85153C24
	s_mov_b64 exec, s[20:21]                                   // 00000000C14C: BEFE0114
	global_atomic_add_f32 v6, v136, s[8:9]                     // 00000000C150: DD348000 00088806
	global_atomic_add_f32 v6, v140, s[8:9] offset:256          // 00000000C158: DD348100 00088C06
	global_atomic_add_f32 v6, v144, s[8:9] offset:512          // 00000000C160: DD348200 00089006
	global_atomic_add_f32 v6, v148, s[8:9] offset:768          // 00000000C168: DD348300 00089406
	s_mov_b64 exec, s[36:37]                                   // 00000000C170: BEFE0124
	v_mov_b32_e32 v6, v47                                      // 00000000C174: 7E0C032F
	s_mov_b64 s[60:61], 0                                      // 00000000C178: BEBC0180
	v_readlane_b32 s82, v3, 6                                  // 00000000C17C: D2890052 00010D03
	s_and_b32 s82, s82, 0xffffff                               // 00000000C184: 8652FF52 00FFFFFF
	s_cmp_lt_u32 s82, s66                                      // 00000000C18C: BF0A4252
	s_cselect_b32 s20, s36, s60                                // 00000000C190: 85143C24
	v_readlane_b32 s82, v3, 7                                  // 00000000C194: D2890052 00010F03
	s_and_b32 s82, s82, 0xffffff                               // 00000000C19C: 8652FF52 00FFFFFF
	s_cmp_lt_u32 s82, s66                                      // 00000000C1A4: BF0A4252
	s_cselect_b32 s21, s36, s60                                // 00000000C1A8: 85153C24
	s_mov_b64 exec, s[20:21]                                   // 00000000C1AC: BEFE0114
	global_atomic_add_f32 v6, v137, s[8:9]                     // 00000000C1B0: DD348000 00088906
	global_atomic_add_f32 v6, v141, s[8:9] offset:256          // 00000000C1B8: DD348100 00088D06
	global_atomic_add_f32 v6, v145, s[8:9] offset:512          // 00000000C1C0: DD348200 00089106
	global_atomic_add_f32 v6, v149, s[8:9] offset:768          // 00000000C1C8: DD348300 00089506
	s_mov_b64 exec, s[36:37]                                   // 00000000C1D0: BEFE0124
	v_mov_b32_e32 v6, v48                                      // 00000000C1D4: 7E0C0330
	s_mov_b64 s[60:61], 0                                      // 00000000C1D8: BEBC0180
	v_readlane_b32 s82, v3, 8                                  // 00000000C1DC: D2890052 00011103
	s_and_b32 s82, s82, 0xffffff                               // 00000000C1E4: 8652FF52 00FFFFFF
	s_cmp_lt_u32 s82, s66                                      // 00000000C1EC: BF0A4252
	s_cselect_b32 s20, s36, s60                                // 00000000C1F0: 85143C24
	v_readlane_b32 s82, v3, 9                                  // 00000000C1F4: D2890052 00011303
	s_and_b32 s82, s82, 0xffffff                               // 00000000C1FC: 8652FF52 00FFFFFF
	s_cmp_lt_u32 s82, s66                                      // 00000000C204: BF0A4252
	s_cselect_b32 s21, s36, s60                                // 00000000C208: 85153C24
	s_mov_b64 exec, s[20:21]                                   // 00000000C20C: BEFE0114
	global_atomic_add_f32 v6, v152, s[8:9]                     // 00000000C210: DD348000 00089806
	global_atomic_add_f32 v6, v156, s[8:9] offset:256          // 00000000C218: DD348100 00089C06
	global_atomic_add_f32 v6, v160, s[8:9] offset:512          // 00000000C220: DD348200 0008A006
	global_atomic_add_f32 v6, v164, s[8:9] offset:768          // 00000000C228: DD348300 0008A406
	s_mov_b64 exec, s[36:37]                                   // 00000000C230: BEFE0124
	v_mov_b32_e32 v6, v49                                      // 00000000C234: 7E0C0331
	s_mov_b64 s[60:61], 0                                      // 00000000C238: BEBC0180
	v_readlane_b32 s82, v3, 10                                 // 00000000C23C: D2890052 00011503
	s_and_b32 s82, s82, 0xffffff                               // 00000000C244: 8652FF52 00FFFFFF
	s_cmp_lt_u32 s82, s66                                      // 00000000C24C: BF0A4252
	s_cselect_b32 s20, s36, s60                                // 00000000C250: 85143C24
	v_readlane_b32 s82, v3, 11                                 // 00000000C254: D2890052 00011703
	s_and_b32 s82, s82, 0xffffff                               // 00000000C25C: 8652FF52 00FFFFFF
	s_cmp_lt_u32 s82, s66                                      // 00000000C264: BF0A4252
	s_cselect_b32 s21, s36, s60                                // 00000000C268: 85153C24
	s_mov_b64 exec, s[20:21]                                   // 00000000C26C: BEFE0114
	global_atomic_add_f32 v6, v153, s[8:9]                     // 00000000C270: DD348000 00089906
	global_atomic_add_f32 v6, v157, s[8:9] offset:256          // 00000000C278: DD348100 00089D06
	global_atomic_add_f32 v6, v161, s[8:9] offset:512          // 00000000C280: DD348200 0008A106
	global_atomic_add_f32 v6, v165, s[8:9] offset:768          // 00000000C288: DD348300 0008A506
	s_mov_b64 exec, s[36:37]                                   // 00000000C290: BEFE0124
	v_mov_b32_e32 v6, v50                                      // 00000000C294: 7E0C0332
	s_mov_b64 s[60:61], 0                                      // 00000000C298: BEBC0180
	v_readlane_b32 s82, v3, 12                                 // 00000000C29C: D2890052 00011903
	s_and_b32 s82, s82, 0xffffff                               // 00000000C2A4: 8652FF52 00FFFFFF
	s_cmp_lt_u32 s82, s66                                      // 00000000C2AC: BF0A4252
	s_cselect_b32 s20, s36, s60                                // 00000000C2B0: 85143C24
	v_readlane_b32 s82, v3, 13                                 // 00000000C2B4: D2890052 00011B03
	s_and_b32 s82, s82, 0xffffff                               // 00000000C2BC: 8652FF52 00FFFFFF
	s_cmp_lt_u32 s82, s66                                      // 00000000C2C4: BF0A4252
	s_cselect_b32 s21, s36, s60                                // 00000000C2C8: 85153C24
	s_mov_b64 exec, s[20:21]                                   // 00000000C2CC: BEFE0114
	global_atomic_add_f32 v6, v168, s[8:9]                     // 00000000C2D0: DD348000 0008A806
	global_atomic_add_f32 v6, v172, s[8:9] offset:256          // 00000000C2D8: DD348100 0008AC06
	global_atomic_add_f32 v6, v176, s[8:9] offset:512          // 00000000C2E0: DD348200 0008B006
	global_atomic_add_f32 v6, v180, s[8:9] offset:768          // 00000000C2E8: DD348300 0008B406
	s_mov_b64 exec, s[36:37]                                   // 00000000C2F0: BEFE0124
	v_mov_b32_e32 v6, v51                                      // 00000000C2F4: 7E0C0333
	s_mov_b64 s[60:61], 0                                      // 00000000C2F8: BEBC0180
	v_readlane_b32 s82, v3, 14                                 // 00000000C2FC: D2890052 00011D03
	s_and_b32 s82, s82, 0xffffff                               // 00000000C304: 8652FF52 00FFFFFF
	s_cmp_lt_u32 s82, s66                                      // 00000000C30C: BF0A4252
	s_cselect_b32 s20, s36, s60                                // 00000000C310: 85143C24
	v_readlane_b32 s82, v3, 15                                 // 00000000C314: D2890052 00011F03
	s_and_b32 s82, s82, 0xffffff                               // 00000000C31C: 8652FF52 00FFFFFF
	s_cmp_lt_u32 s82, s66                                      // 00000000C324: BF0A4252
	s_cselect_b32 s21, s36, s60                                // 00000000C328: 85153C24
	s_mov_b64 exec, s[20:21]                                   // 00000000C32C: BEFE0114
	global_atomic_add_f32 v6, v169, s[8:9]                     // 00000000C330: DD348000 0008A906
	global_atomic_add_f32 v6, v173, s[8:9] offset:256          // 00000000C338: DD348100 0008AD06
	global_atomic_add_f32 v6, v177, s[8:9] offset:512          // 00000000C340: DD348200 0008B106
	global_atomic_add_f32 v6, v181, s[8:9] offset:768          // 00000000C348: DD348300 0008B506
	s_mov_b64 exec, s[36:37]                                   // 00000000C350: BEFE0124
	ds_write_b64 v20, v[122:123]                               // 00000000C354: D89A0000 00007A14
	ds_write_b64 v20, v[126:127] offset:8704                   // 00000000C35C: D89A2200 00007E14
	ds_write_b64 v20, v[130:131] offset:17408                  // 00000000C364: D89A4400 00008214
	ds_write_b64 v20, v[134:135] offset:26112                  // 00000000C36C: D89A6600 00008614
	ds_write_b64 v20, v[138:139] offset:2176                   // 00000000C374: D89A0880 00008A14
	ds_write_b64 v20, v[142:143] offset:10880                  // 00000000C37C: D89A2A80 00008E14
	ds_write_b64 v20, v[146:147] offset:19584                  // 00000000C384: D89A4C80 00009214
	ds_write_b64 v20, v[150:151] offset:28288                  // 00000000C38C: D89A6E80 00009614
	ds_write_b64 v20, v[154:155] offset:4352                   // 00000000C394: D89A1100 00009A14
	ds_write_b64 v20, v[158:159] offset:13056                  // 00000000C39C: D89A3300 00009E14
	ds_write_b64 v20, v[162:163] offset:21760                  // 00000000C3A4: D89A5500 0000A214
	ds_write_b64 v20, v[166:167] offset:30464                  // 00000000C3AC: D89A7700 0000A614
	ds_write_b64 v20, v[170:171] offset:6528                   // 00000000C3B4: D89A1980 0000AA14
	ds_write_b64 v20, v[174:175] offset:15232                  // 00000000C3BC: D89A3B80 0000AE14
	ds_write_b64 v20, v[178:179] offset:23936                  // 00000000C3C4: D89A5D80 0000B214
	ds_write_b64 v20, v[182:183] offset:32640                  // 00000000C3CC: D89A7F80 0000B614
	s_waitcnt lgkmcnt(0)                                       // 00000000C3D4: BF8CC07F
	s_barrier                                                  // 00000000C3D8: BF8A0000
	ds_read_b32 v122, v21                                      // 00000000C3DC: D86C0000 7A000015
	ds_read_b32 v123, v21 offset:64                            // 00000000C3E4: D86C0040 7B000015
	ds_read_b32 v126, v21 offset:2176                          // 00000000C3EC: D86C0880 7E000015
	ds_read_b32 v127, v21 offset:2240                          // 00000000C3F4: D86C08C0 7F000015
	ds_read_b32 v130, v21 offset:4352                          // 00000000C3FC: D86C1100 82000015
	ds_read_b32 v131, v21 offset:4416                          // 00000000C404: D86C1140 83000015
	ds_read_b32 v134, v21 offset:6528                          // 00000000C40C: D86C1980 86000015
	ds_read_b32 v135, v21 offset:6592                          // 00000000C414: D86C19C0 87000015
	ds_read_b32 v138, v21 offset:8704                          // 00000000C41C: D86C2200 8A000015
	ds_read_b32 v139, v21 offset:8768                          // 00000000C424: D86C2240 8B000015
	ds_read_b32 v142, v21 offset:10880                         // 00000000C42C: D86C2A80 8E000015
	ds_read_b32 v143, v21 offset:10944                         // 00000000C434: D86C2AC0 8F000015
	ds_read_b32 v146, v21 offset:13056                         // 00000000C43C: D86C3300 92000015
	ds_read_b32 v147, v21 offset:13120                         // 00000000C444: D86C3340 93000015
	ds_read_b32 v150, v21 offset:15232                         // 00000000C44C: D86C3B80 96000015
	ds_read_b32 v151, v21 offset:15296                         // 00000000C454: D86C3BC0 97000015
	ds_read_b32 v154, v21 offset:17408                         // 00000000C45C: D86C4400 9A000015
	ds_read_b32 v155, v21 offset:17472                         // 00000000C464: D86C4440 9B000015
	ds_read_b32 v158, v21 offset:19584                         // 00000000C46C: D86C4C80 9E000015
	ds_read_b32 v159, v21 offset:19648                         // 00000000C474: D86C4CC0 9F000015
	ds_read_b32 v162, v21 offset:21760                         // 00000000C47C: D86C5500 A2000015
	ds_read_b32 v163, v21 offset:21824                         // 00000000C484: D86C5540 A3000015
	ds_read_b32 v166, v21 offset:23936                         // 00000000C48C: D86C5D80 A6000015
	ds_read_b32 v167, v21 offset:24000                         // 00000000C494: D86C5DC0 A7000015
	ds_read_b32 v170, v21 offset:26112                         // 00000000C49C: D86C6600 AA000015
	ds_read_b32 v171, v21 offset:26176                         // 00000000C4A4: D86C6640 AB000015
	ds_read_b32 v174, v21 offset:28288                         // 00000000C4AC: D86C6E80 AE000015
	ds_read_b32 v175, v21 offset:28352                         // 00000000C4B4: D86C6EC0 AF000015
	ds_read_b32 v178, v21 offset:30464                         // 00000000C4BC: D86C7700 B2000015
	ds_read_b32 v179, v21 offset:30528                         // 00000000C4C4: D86C7740 B3000015
	ds_read_b32 v182, v21 offset:32640                         // 00000000C4CC: D86C7F80 B6000015
	ds_read_b32 v183, v21 offset:32704                         // 00000000C4D4: D86C7FC0 B7000015
	s_waitcnt lgkmcnt(0)                                       // 00000000C4DC: BF8CC07F
	v_mov_b32_e32 v7, 0                                        // 00000000C4E0: 7E0E0280
	s_mov_b64 exec, s[36:37]                                   // 00000000C4E4: BEFE0124
	v_mov_b32_e32 v6, v44                                      // 00000000C4E8: 7E0C032C
	s_mov_b64 s[60:61], 0                                      // 00000000C4EC: BEBC0180
	v_readlane_b32 s82, v3, 0                                  // 00000000C4F0: D2890052 00010103
	s_and_b32 s82, s82, 0xffffff                               // 00000000C4F8: 8652FF52 00FFFFFF
	s_cmp_lt_u32 s82, s66                                      // 00000000C500: BF0A4252
	s_cselect_b32 s20, s36, s60                                // 00000000C504: 85143C24
	v_readlane_b32 s82, v3, 1                                  // 00000000C508: D2890052 00010303
	s_and_b32 s82, s82, 0xffffff                               // 00000000C510: 8652FF52 00FFFFFF
	s_cmp_lt_u32 s82, s66                                      // 00000000C518: BF0A4252
	s_cselect_b32 s21, s36, s60                                // 00000000C51C: 85153C24
	s_mov_b64 exec, s[20:21]                                   // 00000000C520: BEFE0114
	global_atomic_add_f32 v6, v122, s[8:9] offset:8            // 00000000C524: DD348008 00087A06
	global_atomic_add_f32 v6, v126, s[8:9] offset:264          // 00000000C52C: DD348108 00087E06
	global_atomic_add_f32 v6, v130, s[8:9] offset:520          // 00000000C534: DD348208 00088206
	global_atomic_add_f32 v6, v134, s[8:9] offset:776          // 00000000C53C: DD348308 00088606
	s_mov_b64 exec, s[36:37]                                   // 00000000C544: BEFE0124
	v_mov_b32_e32 v6, v45                                      // 00000000C548: 7E0C032D
	s_mov_b64 s[60:61], 0                                      // 00000000C54C: BEBC0180
	v_readlane_b32 s82, v3, 2                                  // 00000000C550: D2890052 00010503
	s_and_b32 s82, s82, 0xffffff                               // 00000000C558: 8652FF52 00FFFFFF
	s_cmp_lt_u32 s82, s66                                      // 00000000C560: BF0A4252
	s_cselect_b32 s20, s36, s60                                // 00000000C564: 85143C24
	v_readlane_b32 s82, v3, 3                                  // 00000000C568: D2890052 00010703
	s_and_b32 s82, s82, 0xffffff                               // 00000000C570: 8652FF52 00FFFFFF
	s_cmp_lt_u32 s82, s66                                      // 00000000C578: BF0A4252
	s_cselect_b32 s21, s36, s60                                // 00000000C57C: 85153C24
	s_mov_b64 exec, s[20:21]                                   // 00000000C580: BEFE0114
	global_atomic_add_f32 v6, v123, s[8:9] offset:8            // 00000000C584: DD348008 00087B06
	global_atomic_add_f32 v6, v127, s[8:9] offset:264          // 00000000C58C: DD348108 00087F06
	global_atomic_add_f32 v6, v131, s[8:9] offset:520          // 00000000C594: DD348208 00088306
	global_atomic_add_f32 v6, v135, s[8:9] offset:776          // 00000000C59C: DD348308 00088706
	s_mov_b64 exec, s[36:37]                                   // 00000000C5A4: BEFE0124
	v_mov_b32_e32 v6, v46                                      // 00000000C5A8: 7E0C032E
	s_mov_b64 s[60:61], 0                                      // 00000000C5AC: BEBC0180
	v_readlane_b32 s82, v3, 4                                  // 00000000C5B0: D2890052 00010903
	s_and_b32 s82, s82, 0xffffff                               // 00000000C5B8: 8652FF52 00FFFFFF
	s_cmp_lt_u32 s82, s66                                      // 00000000C5C0: BF0A4252
	s_cselect_b32 s20, s36, s60                                // 00000000C5C4: 85143C24
	v_readlane_b32 s82, v3, 5                                  // 00000000C5C8: D2890052 00010B03
	s_and_b32 s82, s82, 0xffffff                               // 00000000C5D0: 8652FF52 00FFFFFF
	s_cmp_lt_u32 s82, s66                                      // 00000000C5D8: BF0A4252
	s_cselect_b32 s21, s36, s60                                // 00000000C5DC: 85153C24
	s_mov_b64 exec, s[20:21]                                   // 00000000C5E0: BEFE0114
	global_atomic_add_f32 v6, v138, s[8:9] offset:8            // 00000000C5E4: DD348008 00088A06
	global_atomic_add_f32 v6, v142, s[8:9] offset:264          // 00000000C5EC: DD348108 00088E06
	global_atomic_add_f32 v6, v146, s[8:9] offset:520          // 00000000C5F4: DD348208 00089206
	global_atomic_add_f32 v6, v150, s[8:9] offset:776          // 00000000C5FC: DD348308 00089606
	s_mov_b64 exec, s[36:37]                                   // 00000000C604: BEFE0124
	v_mov_b32_e32 v6, v47                                      // 00000000C608: 7E0C032F
	s_mov_b64 s[60:61], 0                                      // 00000000C60C: BEBC0180
	v_readlane_b32 s82, v3, 6                                  // 00000000C610: D2890052 00010D03
	s_and_b32 s82, s82, 0xffffff                               // 00000000C618: 8652FF52 00FFFFFF
	s_cmp_lt_u32 s82, s66                                      // 00000000C620: BF0A4252
	s_cselect_b32 s20, s36, s60                                // 00000000C624: 85143C24
	v_readlane_b32 s82, v3, 7                                  // 00000000C628: D2890052 00010F03
	s_and_b32 s82, s82, 0xffffff                               // 00000000C630: 8652FF52 00FFFFFF
	s_cmp_lt_u32 s82, s66                                      // 00000000C638: BF0A4252
	s_cselect_b32 s21, s36, s60                                // 00000000C63C: 85153C24
	s_mov_b64 exec, s[20:21]                                   // 00000000C640: BEFE0114
	global_atomic_add_f32 v6, v139, s[8:9] offset:8            // 00000000C644: DD348008 00088B06
	global_atomic_add_f32 v6, v143, s[8:9] offset:264          // 00000000C64C: DD348108 00088F06
	global_atomic_add_f32 v6, v147, s[8:9] offset:520          // 00000000C654: DD348208 00089306
	global_atomic_add_f32 v6, v151, s[8:9] offset:776          // 00000000C65C: DD348308 00089706
	s_mov_b64 exec, s[36:37]                                   // 00000000C664: BEFE0124
	v_mov_b32_e32 v6, v48                                      // 00000000C668: 7E0C0330
	s_mov_b64 s[60:61], 0                                      // 00000000C66C: BEBC0180
	v_readlane_b32 s82, v3, 8                                  // 00000000C670: D2890052 00011103
	s_and_b32 s82, s82, 0xffffff                               // 00000000C678: 8652FF52 00FFFFFF
	s_cmp_lt_u32 s82, s66                                      // 00000000C680: BF0A4252
	s_cselect_b32 s20, s36, s60                                // 00000000C684: 85143C24
	v_readlane_b32 s82, v3, 9                                  // 00000000C688: D2890052 00011303
	s_and_b32 s82, s82, 0xffffff                               // 00000000C690: 8652FF52 00FFFFFF
	s_cmp_lt_u32 s82, s66                                      // 00000000C698: BF0A4252
	s_cselect_b32 s21, s36, s60                                // 00000000C69C: 85153C24
	s_mov_b64 exec, s[20:21]                                   // 00000000C6A0: BEFE0114
	global_atomic_add_f32 v6, v154, s[8:9] offset:8            // 00000000C6A4: DD348008 00089A06
	global_atomic_add_f32 v6, v158, s[8:9] offset:264          // 00000000C6AC: DD348108 00089E06
	global_atomic_add_f32 v6, v162, s[8:9] offset:520          // 00000000C6B4: DD348208 0008A206
	global_atomic_add_f32 v6, v166, s[8:9] offset:776          // 00000000C6BC: DD348308 0008A606
	s_mov_b64 exec, s[36:37]                                   // 00000000C6C4: BEFE0124
	v_mov_b32_e32 v6, v49                                      // 00000000C6C8: 7E0C0331
	s_mov_b64 s[60:61], 0                                      // 00000000C6CC: BEBC0180
	v_readlane_b32 s82, v3, 10                                 // 00000000C6D0: D2890052 00011503
	s_and_b32 s82, s82, 0xffffff                               // 00000000C6D8: 8652FF52 00FFFFFF
	s_cmp_lt_u32 s82, s66                                      // 00000000C6E0: BF0A4252
	s_cselect_b32 s20, s36, s60                                // 00000000C6E4: 85143C24
	v_readlane_b32 s82, v3, 11                                 // 00000000C6E8: D2890052 00011703
	s_and_b32 s82, s82, 0xffffff                               // 00000000C6F0: 8652FF52 00FFFFFF
	s_cmp_lt_u32 s82, s66                                      // 00000000C6F8: BF0A4252
	s_cselect_b32 s21, s36, s60                                // 00000000C6FC: 85153C24
	s_mov_b64 exec, s[20:21]                                   // 00000000C700: BEFE0114
	global_atomic_add_f32 v6, v155, s[8:9] offset:8            // 00000000C704: DD348008 00089B06
	global_atomic_add_f32 v6, v159, s[8:9] offset:264          // 00000000C70C: DD348108 00089F06
	global_atomic_add_f32 v6, v163, s[8:9] offset:520          // 00000000C714: DD348208 0008A306
	global_atomic_add_f32 v6, v167, s[8:9] offset:776          // 00000000C71C: DD348308 0008A706
	s_mov_b64 exec, s[36:37]                                   // 00000000C724: BEFE0124
	v_mov_b32_e32 v6, v50                                      // 00000000C728: 7E0C0332
	s_mov_b64 s[60:61], 0                                      // 00000000C72C: BEBC0180
	v_readlane_b32 s82, v3, 12                                 // 00000000C730: D2890052 00011903
	s_and_b32 s82, s82, 0xffffff                               // 00000000C738: 8652FF52 00FFFFFF
	s_cmp_lt_u32 s82, s66                                      // 00000000C740: BF0A4252
	s_cselect_b32 s20, s36, s60                                // 00000000C744: 85143C24
	v_readlane_b32 s82, v3, 13                                 // 00000000C748: D2890052 00011B03
	s_and_b32 s82, s82, 0xffffff                               // 00000000C750: 8652FF52 00FFFFFF
	s_cmp_lt_u32 s82, s66                                      // 00000000C758: BF0A4252
	s_cselect_b32 s21, s36, s60                                // 00000000C75C: 85153C24
	s_mov_b64 exec, s[20:21]                                   // 00000000C760: BEFE0114
	global_atomic_add_f32 v6, v170, s[8:9] offset:8            // 00000000C764: DD348008 0008AA06
	global_atomic_add_f32 v6, v174, s[8:9] offset:264          // 00000000C76C: DD348108 0008AE06
	global_atomic_add_f32 v6, v178, s[8:9] offset:520          // 00000000C774: DD348208 0008B206
	global_atomic_add_f32 v6, v182, s[8:9] offset:776          // 00000000C77C: DD348308 0008B606
	s_mov_b64 exec, s[36:37]                                   // 00000000C784: BEFE0124
	v_mov_b32_e32 v6, v51                                      // 00000000C788: 7E0C0333
	s_mov_b64 s[60:61], 0                                      // 00000000C78C: BEBC0180
	v_readlane_b32 s82, v3, 14                                 // 00000000C790: D2890052 00011D03
	s_and_b32 s82, s82, 0xffffff                               // 00000000C798: 8652FF52 00FFFFFF
	s_cmp_lt_u32 s82, s66                                      // 00000000C7A0: BF0A4252
	s_cselect_b32 s20, s36, s60                                // 00000000C7A4: 85143C24
	v_readlane_b32 s82, v3, 15                                 // 00000000C7A8: D2890052 00011F03
	s_and_b32 s82, s82, 0xffffff                               // 00000000C7B0: 8652FF52 00FFFFFF
	s_cmp_lt_u32 s82, s66                                      // 00000000C7B8: BF0A4252
	s_cselect_b32 s21, s36, s60                                // 00000000C7BC: 85153C24
	s_mov_b64 exec, s[20:21]                                   // 00000000C7C0: BEFE0114
	global_atomic_add_f32 v6, v171, s[8:9] offset:8            // 00000000C7C4: DD348008 0008AB06
	global_atomic_add_f32 v6, v175, s[8:9] offset:264          // 00000000C7CC: DD348108 0008AF06
	global_atomic_add_f32 v6, v179, s[8:9] offset:520          // 00000000C7D4: DD348208 0008B306
	global_atomic_add_f32 v6, v183, s[8:9] offset:776          // 00000000C7DC: DD348308 0008B706
	s_mov_b64 exec, s[36:37]                                   // 00000000C7E4: BEFE0124
	s_branch label_277E                                        // 00000000C7E8: BF820000

000000000000c7ec <label_277E>:
	s_waitcnt vmcnt(0) expcnt(0) lgkmcnt(0)                    // 00000000C7EC: BF8C0000
	s_endpgm                                                   // 00000000C7F0: BF810000
